;; amdgpu-corpus repo=ROCm/rocFFT kind=compiled arch=gfx906 opt=O3
	.text
	.amdgcn_target "amdgcn-amd-amdhsa--gfx906"
	.amdhsa_code_object_version 6
	.protected	fft_rtc_fwd_len289_factors_17_17_wgs_119_tpt_17_dp_ip_CI_sbcc_dirReg ; -- Begin function fft_rtc_fwd_len289_factors_17_17_wgs_119_tpt_17_dp_ip_CI_sbcc_dirReg
	.globl	fft_rtc_fwd_len289_factors_17_17_wgs_119_tpt_17_dp_ip_CI_sbcc_dirReg
	.p2align	8
	.type	fft_rtc_fwd_len289_factors_17_17_wgs_119_tpt_17_dp_ip_CI_sbcc_dirReg,@function
fft_rtc_fwd_len289_factors_17_17_wgs_119_tpt_17_dp_ip_CI_sbcc_dirReg: ; @fft_rtc_fwd_len289_factors_17_17_wgs_119_tpt_17_dp_ip_CI_sbcc_dirReg
; %bb.0:
	s_load_dwordx4 s[0:3], s[4:5], 0x18
	s_mov_b32 s7, 0
	s_mov_b64 s[22:23], 0
	s_waitcnt lgkmcnt(0)
	s_load_dwordx2 s[16:17], s[0:1], 0x8
	s_waitcnt lgkmcnt(0)
	s_add_u32 s8, s16, -1
	s_addc_u32 s9, s17, -1
	s_add_u32 s10, 0, 0x92481000
	s_addc_u32 s11, 0, 0x64
	s_mul_hi_u32 s13, s10, -7
	s_add_i32 s11, s11, 0x249248c0
	s_sub_i32 s13, s13, s10
	s_mul_i32 s18, s11, -7
	s_mul_i32 s12, s10, -7
	s_add_i32 s13, s13, s18
	s_mul_hi_u32 s14, s11, s12
	s_mul_i32 s15, s11, s12
	s_mul_i32 s19, s10, s13
	s_mul_hi_u32 s12, s10, s12
	s_mul_hi_u32 s18, s10, s13
	s_add_u32 s12, s12, s19
	s_addc_u32 s18, 0, s18
	s_add_u32 s12, s12, s15
	s_mul_hi_u32 s19, s11, s13
	s_addc_u32 s12, s18, s14
	s_addc_u32 s14, s19, 0
	s_mul_i32 s13, s11, s13
	s_add_u32 s12, s12, s13
	v_mov_b32_e32 v1, s12
	s_addc_u32 s13, 0, s14
	v_add_co_u32_e32 v1, vcc, s10, v1
	s_cmp_lg_u64 vcc, 0
	s_addc_u32 s10, s11, s13
	v_readfirstlane_b32 s13, v1
	s_mul_i32 s12, s8, s10
	s_mul_hi_u32 s14, s8, s13
	s_mul_hi_u32 s11, s8, s10
	s_add_u32 s12, s14, s12
	s_addc_u32 s11, 0, s11
	s_mul_hi_u32 s15, s9, s13
	s_mul_i32 s13, s9, s13
	s_add_u32 s12, s12, s13
	s_mul_hi_u32 s14, s9, s10
	s_addc_u32 s11, s11, s15
	s_addc_u32 s12, s14, 0
	s_mul_i32 s10, s9, s10
	s_add_u32 s10, s11, s10
	s_addc_u32 s11, 0, s12
	s_add_u32 s12, s10, 1
	s_addc_u32 s13, s11, 0
	s_add_u32 s14, s10, 2
	s_mul_i32 s18, s11, 7
	s_mul_hi_u32 s19, s10, 7
	s_addc_u32 s15, s11, 0
	s_add_i32 s19, s19, s18
	s_mul_i32 s18, s10, 7
	v_mov_b32_e32 v1, s18
	v_sub_co_u32_e32 v1, vcc, s8, v1
	s_cmp_lg_u64 vcc, 0
	s_subb_u32 s8, s9, s19
	v_subrev_co_u32_e32 v2, vcc, 7, v1
	s_cmp_lg_u64 vcc, 0
	s_subb_u32 s9, s8, 0
	v_readfirstlane_b32 s18, v2
	s_cmp_gt_u32 s18, 6
	s_cselect_b32 s18, -1, 0
	s_cmp_eq_u32 s9, 0
	s_cselect_b32 s9, s18, -1
	s_cmp_lg_u32 s9, 0
	s_cselect_b32 s9, s14, s12
	s_cselect_b32 s12, s15, s13
	v_readfirstlane_b32 s13, v1
	s_cmp_gt_u32 s13, 6
	s_cselect_b32 s13, -1, 0
	s_cmp_eq_u32 s8, 0
	s_cselect_b32 s8, s13, -1
	s_cmp_lg_u32 s8, 0
	s_cselect_b32 s9, s9, s10
	s_cselect_b32 s8, s12, s11
	s_add_u32 s18, s9, 1
	s_addc_u32 s19, s8, 0
	v_mov_b32_e32 v1, s18
	v_mov_b32_e32 v2, s19
	v_cmp_lt_u64_e32 vcc, s[6:7], v[1:2]
	s_cbranch_vccnz .LBB0_2
; %bb.1:
	v_cvt_f32_u32_e32 v1, s18
	s_sub_i32 s8, 0, s18
	s_mov_b32 s23, s7
	v_rcp_iflag_f32_e32 v1, v1
	v_mul_f32_e32 v1, 0x4f7ffffe, v1
	v_cvt_u32_f32_e32 v1, v1
	v_readfirstlane_b32 s9, v1
	s_mul_i32 s8, s8, s9
	s_mul_hi_u32 s8, s9, s8
	s_add_i32 s9, s9, s8
	s_mul_hi_u32 s8, s6, s9
	s_mul_i32 s10, s8, s18
	s_sub_i32 s10, s6, s10
	s_add_i32 s9, s8, 1
	s_sub_i32 s11, s10, s18
	s_cmp_ge_u32 s10, s18
	s_cselect_b32 s8, s9, s8
	s_cselect_b32 s10, s11, s10
	s_add_i32 s9, s8, 1
	s_cmp_ge_u32 s10, s18
	s_cselect_b32 s22, s9, s8
.LBB0_2:
	s_load_dwordx2 s[14:15], s[4:5], 0x0
	s_load_dwordx4 s[8:11], s[2:3], 0x0
	s_load_dwordx2 s[12:13], s[4:5], 0x58
	s_load_dwordx2 s[20:21], s[4:5], 0x10
	s_mul_i32 s4, s22, s19
	s_mul_hi_u32 s5, s22, s18
	s_add_i32 s5, s5, s4
	s_mul_i32 s4, s22, s18
	s_sub_u32 s36, s6, s4
	s_subb_u32 s4, 0, s5
	s_mul_i32 s4, s4, 7
	s_mul_hi_u32 s33, s36, 7
	s_add_i32 s33, s33, s4
	s_mul_i32 s36, s36, 7
	s_waitcnt lgkmcnt(0)
	s_mul_i32 s4, s10, s33
	s_mul_hi_u32 s5, s10, s36
	s_add_i32 s4, s5, s4
	s_mul_i32 s5, s11, s36
	s_add_i32 s37, s4, s5
	v_cmp_lt_u64_e64 s[4:5], s[20:21], 3
	s_mul_i32 s38, s10, s36
	s_and_b64 vcc, exec, s[4:5]
	s_cbranch_vccnz .LBB0_12
; %bb.3:
	s_add_u32 s4, s2, 16
	s_addc_u32 s5, s3, 0
	s_add_u32 s24, s0, 16
	v_mov_b32_e32 v1, s20
	s_addc_u32 s25, s1, 0
	s_mov_b64 s[26:27], 2
	s_mov_b32 s28, 0
	v_mov_b32_e32 v2, s21
.LBB0_4:                                ; =>This Inner Loop Header: Depth=1
	s_load_dwordx2 s[30:31], s[24:25], 0x0
	s_waitcnt lgkmcnt(0)
	s_or_b64 s[0:1], s[22:23], s[30:31]
	s_mov_b32 s29, s1
	s_cmp_lg_u64 s[28:29], 0
	s_cbranch_scc0 .LBB0_9
; %bb.5:                                ;   in Loop: Header=BB0_4 Depth=1
	v_cvt_f32_u32_e32 v3, s30
	v_cvt_f32_u32_e32 v4, s31
	s_sub_u32 s0, 0, s30
	s_subb_u32 s1, 0, s31
	v_mac_f32_e32 v3, 0x4f800000, v4
	v_rcp_f32_e32 v3, v3
	v_mul_f32_e32 v3, 0x5f7ffffc, v3
	v_mul_f32_e32 v4, 0x2f800000, v3
	v_trunc_f32_e32 v4, v4
	v_mac_f32_e32 v3, 0xcf800000, v4
	v_cvt_u32_f32_e32 v4, v4
	v_cvt_u32_f32_e32 v3, v3
	v_readfirstlane_b32 s29, v4
	v_readfirstlane_b32 s34, v3
	s_mul_i32 s35, s0, s29
	s_mul_hi_u32 s40, s0, s34
	s_mul_i32 s39, s1, s34
	s_add_i32 s35, s40, s35
	s_mul_i32 s41, s0, s34
	s_add_i32 s35, s35, s39
	s_mul_hi_u32 s39, s34, s35
	s_mul_i32 s40, s34, s35
	s_mul_hi_u32 s34, s34, s41
	s_add_u32 s34, s34, s40
	s_addc_u32 s39, 0, s39
	s_mul_hi_u32 s42, s29, s41
	s_mul_i32 s41, s29, s41
	s_add_u32 s34, s34, s41
	s_mul_hi_u32 s40, s29, s35
	s_addc_u32 s34, s39, s42
	s_addc_u32 s39, s40, 0
	s_mul_i32 s35, s29, s35
	s_add_u32 s34, s34, s35
	s_addc_u32 s35, 0, s39
	v_add_co_u32_e32 v3, vcc, s34, v3
	s_cmp_lg_u64 vcc, 0
	s_addc_u32 s29, s29, s35
	v_readfirstlane_b32 s35, v3
	s_mul_i32 s34, s0, s29
	s_mul_hi_u32 s39, s0, s35
	s_add_i32 s34, s39, s34
	s_mul_i32 s1, s1, s35
	s_add_i32 s34, s34, s1
	s_mul_i32 s0, s0, s35
	s_mul_hi_u32 s39, s29, s0
	s_mul_i32 s40, s29, s0
	s_mul_i32 s42, s35, s34
	s_mul_hi_u32 s0, s35, s0
	s_mul_hi_u32 s41, s35, s34
	s_add_u32 s0, s0, s42
	s_addc_u32 s35, 0, s41
	s_add_u32 s0, s0, s40
	s_mul_hi_u32 s1, s29, s34
	s_addc_u32 s0, s35, s39
	s_addc_u32 s1, s1, 0
	s_mul_i32 s34, s29, s34
	s_add_u32 s0, s0, s34
	s_addc_u32 s1, 0, s1
	v_add_co_u32_e32 v3, vcc, s0, v3
	s_cmp_lg_u64 vcc, 0
	s_addc_u32 s0, s29, s1
	v_readfirstlane_b32 s34, v3
	s_mul_i32 s29, s22, s0
	s_mul_hi_u32 s35, s22, s34
	s_mul_hi_u32 s1, s22, s0
	s_add_u32 s29, s35, s29
	s_addc_u32 s1, 0, s1
	s_mul_hi_u32 s39, s23, s34
	s_mul_i32 s34, s23, s34
	s_add_u32 s29, s29, s34
	s_mul_hi_u32 s35, s23, s0
	s_addc_u32 s1, s1, s39
	s_addc_u32 s29, s35, 0
	s_mul_i32 s0, s23, s0
	s_add_u32 s34, s1, s0
	s_addc_u32 s29, 0, s29
	s_mul_i32 s0, s30, s29
	s_mul_hi_u32 s1, s30, s34
	s_add_i32 s0, s1, s0
	s_mul_i32 s1, s31, s34
	s_add_i32 s35, s0, s1
	s_mul_i32 s1, s30, s34
	v_mov_b32_e32 v3, s1
	s_sub_i32 s0, s23, s35
	v_sub_co_u32_e32 v3, vcc, s22, v3
	s_cmp_lg_u64 vcc, 0
	s_subb_u32 s39, s0, s31
	v_subrev_co_u32_e64 v4, s[0:1], s30, v3
	s_cmp_lg_u64 s[0:1], 0
	s_subb_u32 s0, s39, 0
	s_cmp_ge_u32 s0, s31
	v_readfirstlane_b32 s39, v4
	s_cselect_b32 s1, -1, 0
	s_cmp_ge_u32 s39, s30
	s_cselect_b32 s39, -1, 0
	s_cmp_eq_u32 s0, s31
	s_cselect_b32 s0, s39, s1
	s_add_u32 s1, s34, 1
	s_addc_u32 s39, s29, 0
	s_add_u32 s40, s34, 2
	s_addc_u32 s41, s29, 0
	s_cmp_lg_u32 s0, 0
	s_cselect_b32 s0, s40, s1
	s_cselect_b32 s1, s41, s39
	s_cmp_lg_u64 vcc, 0
	s_subb_u32 s35, s23, s35
	s_cmp_ge_u32 s35, s31
	v_readfirstlane_b32 s40, v3
	s_cselect_b32 s39, -1, 0
	s_cmp_ge_u32 s40, s30
	s_cselect_b32 s40, -1, 0
	s_cmp_eq_u32 s35, s31
	s_cselect_b32 s35, s40, s39
	s_cmp_lg_u32 s35, 0
	s_cselect_b32 s1, s1, s29
	s_cselect_b32 s0, s0, s34
	s_cbranch_execnz .LBB0_7
.LBB0_6:                                ;   in Loop: Header=BB0_4 Depth=1
	v_cvt_f32_u32_e32 v3, s30
	s_sub_i32 s0, 0, s30
	v_rcp_iflag_f32_e32 v3, v3
	v_mul_f32_e32 v3, 0x4f7ffffe, v3
	v_cvt_u32_f32_e32 v3, v3
	v_readfirstlane_b32 s1, v3
	s_mul_i32 s0, s0, s1
	s_mul_hi_u32 s0, s1, s0
	s_add_i32 s1, s1, s0
	s_mul_hi_u32 s0, s22, s1
	s_mul_i32 s29, s0, s30
	s_sub_i32 s29, s22, s29
	s_add_i32 s1, s0, 1
	s_sub_i32 s34, s29, s30
	s_cmp_ge_u32 s29, s30
	s_cselect_b32 s0, s1, s0
	s_cselect_b32 s29, s34, s29
	s_add_i32 s1, s0, 1
	s_cmp_ge_u32 s29, s30
	s_cselect_b32 s0, s1, s0
	s_mov_b32 s1, s28
.LBB0_7:                                ;   in Loop: Header=BB0_4 Depth=1
	s_mul_i32 s19, s30, s19
	s_mul_hi_u32 s29, s30, s18
	s_add_i32 s19, s29, s19
	s_mul_i32 s29, s31, s18
	s_add_i32 s19, s19, s29
	s_mul_i32 s29, s0, s31
	s_mul_hi_u32 s31, s0, s30
	s_load_dwordx2 s[34:35], s[4:5], 0x0
	s_add_i32 s29, s31, s29
	s_mul_i32 s31, s1, s30
	s_mul_i32 s18, s30, s18
	s_add_i32 s29, s29, s31
	s_mul_i32 s30, s0, s30
	s_sub_u32 s22, s22, s30
	s_subb_u32 s23, s23, s29
	s_waitcnt lgkmcnt(0)
	s_mul_i32 s23, s34, s23
	s_mul_hi_u32 s29, s34, s22
	s_add_i32 s23, s29, s23
	s_mul_i32 s29, s35, s22
	s_add_i32 s23, s23, s29
	s_mul_i32 s22, s34, s22
	s_add_u32 s38, s22, s38
	s_addc_u32 s37, s23, s37
	s_add_u32 s26, s26, 1
	s_addc_u32 s27, s27, 0
	;; [unrolled: 2-line block ×3, first 2 shown]
	v_cmp_ge_u64_e32 vcc, s[26:27], v[1:2]
	s_add_u32 s24, s24, 8
	s_addc_u32 s25, s25, 0
	s_cbranch_vccnz .LBB0_10
; %bb.8:                                ;   in Loop: Header=BB0_4 Depth=1
	s_mov_b64 s[22:23], s[0:1]
	s_branch .LBB0_4
.LBB0_9:                                ;   in Loop: Header=BB0_4 Depth=1
                                        ; implicit-def: $sgpr0_sgpr1
	s_branch .LBB0_6
.LBB0_10:
	v_mov_b32_e32 v1, s18
	v_mov_b32_e32 v2, s19
	v_cmp_lt_u64_e32 vcc, s[6:7], v[1:2]
	s_mov_b64 s[22:23], 0
	s_cbranch_vccnz .LBB0_12
; %bb.11:
	v_cvt_f32_u32_e32 v1, s18
	s_sub_i32 s0, 0, s18
	v_rcp_iflag_f32_e32 v1, v1
	v_mul_f32_e32 v1, 0x4f7ffffe, v1
	v_cvt_u32_f32_e32 v1, v1
	v_readfirstlane_b32 s1, v1
	s_mul_i32 s0, s0, s1
	s_mul_hi_u32 s0, s1, s0
	s_add_i32 s1, s1, s0
	s_mul_hi_u32 s0, s6, s1
	s_mul_i32 s4, s0, s18
	s_sub_i32 s4, s6, s4
	s_add_i32 s1, s0, 1
	s_sub_i32 s5, s4, s18
	s_cmp_ge_u32 s4, s18
	s_cselect_b32 s0, s1, s0
	s_cselect_b32 s4, s5, s4
	s_add_i32 s1, s0, 1
	s_cmp_ge_u32 s4, s18
	s_cselect_b32 s22, s1, s0
.LBB0_12:
	s_lshl_b64 s[0:1], s[20:21], 3
	s_add_u32 s0, s2, s0
	s_addc_u32 s1, s3, s1
	s_load_dwordx2 s[0:1], s[0:1], 0x0
	v_mul_u32_u24_e32 v1, 0x2493, v0
	v_lshrrev_b32_e32 v121, 16, v1
	v_mul_lo_u16_e32 v1, 7, v121
	v_sub_u16_e32 v177, v0, v1
	s_waitcnt lgkmcnt(0)
	s_mul_i32 s1, s1, s22
	s_mul_hi_u32 s2, s0, s22
	s_mul_i32 s0, s0, s22
	s_add_i32 s1, s2, s1
	s_add_u32 s2, s0, s38
	s_addc_u32 s3, s1, s37
	s_add_u32 s0, s36, 7
	v_mov_b32_e32 v1, s16
	s_addc_u32 s1, s33, 0
	v_mov_b32_e32 v2, s17
	v_cmp_le_u64_e32 vcc, s[0:1], v[1:2]
	v_mov_b32_e32 v2, s33
	v_add_co_u32_e64 v1, s[0:1], s36, v177
	v_addc_co_u32_e64 v2, s[0:1], 0, v2, s[0:1]
	v_cmp_gt_u64_e64 s[0:1], s[16:17], v[1:2]
                                        ; kill: def $vgpr1_vgpr2 killed $sgpr0_sgpr1 killed $exec
                                        ; implicit-def: $vgpr7_vgpr8
                                        ; implicit-def: $vgpr15_vgpr16
                                        ; implicit-def: $vgpr11_vgpr12
                                        ; implicit-def: $vgpr19_vgpr20
                                        ; implicit-def: $vgpr23_vgpr24
                                        ; implicit-def: $vgpr27_vgpr28
                                        ; implicit-def: $vgpr31_vgpr32
                                        ; implicit-def: $vgpr35_vgpr36
                                        ; implicit-def: $vgpr39_vgpr40
                                        ; implicit-def: $vgpr43_vgpr44
                                        ; implicit-def: $vgpr51_vgpr52
                                        ; implicit-def: $vgpr59_vgpr60
                                        ; implicit-def: $vgpr67_vgpr68
                                        ; implicit-def: $vgpr63_vgpr64
                                        ; implicit-def: $vgpr55_vgpr56
                                        ; implicit-def: $vgpr47_vgpr48
                                        ; implicit-def: $vgpr3_vgpr4
	s_or_b64 s[60:61], vcc, s[0:1]
	s_and_saveexec_b64 s[0:1], s[60:61]
	s_cbranch_execz .LBB0_14
; %bb.13:
	v_mad_u64_u32 v[1:2], s[4:5], s10, v177, 0
	v_mad_u64_u32 v[3:4], s[4:5], s8, v121, 0
	v_add_u32_e32 v8, 17, v121
	v_mad_u64_u32 v[5:6], s[4:5], s11, v177, v[2:3]
	v_mov_b32_e32 v2, v4
	v_mad_u64_u32 v[6:7], s[4:5], s9, v121, v[2:3]
	s_lshl_b64 s[4:5], s[2:3], 4
	s_add_u32 s6, s12, s4
	s_addc_u32 s4, s13, s5
	v_mov_b32_e32 v2, v5
	v_mov_b32_e32 v4, v6
	;; [unrolled: 1-line block ×3, first 2 shown]
	v_mad_u64_u32 v[5:6], s[4:5], s8, v8, 0
	v_lshlrev_b64 v[1:2], 4, v[1:2]
	v_add_co_u32_e32 v9, vcc, s6, v1
	v_addc_co_u32_e32 v10, vcc, v7, v2, vcc
	v_lshlrev_b64 v[1:2], 4, v[3:4]
	v_mov_b32_e32 v3, v6
	v_mad_u64_u32 v[3:4], s[4:5], s9, v8, v[3:4]
	v_add_u32_e32 v4, 34, v121
	v_mad_u64_u32 v[7:8], s[4:5], s8, v4, 0
	v_add_co_u32_e32 v13, vcc, v9, v1
	v_mov_b32_e32 v6, v3
	v_mov_b32_e32 v3, v8
	v_addc_co_u32_e32 v14, vcc, v10, v2, vcc
	v_lshlrev_b64 v[1:2], 4, v[5:6]
	v_mad_u64_u32 v[3:4], s[4:5], s9, v4, v[3:4]
	v_add_u32_e32 v6, 51, v121
	v_mad_u64_u32 v[4:5], s[4:5], s8, v6, 0
	v_add_co_u32_e32 v15, vcc, v9, v1
	v_mov_b32_e32 v8, v3
	v_mov_b32_e32 v3, v5
	v_addc_co_u32_e32 v16, vcc, v10, v2, vcc
	v_lshlrev_b64 v[1:2], 4, v[7:8]
	v_mad_u64_u32 v[5:6], s[4:5], s9, v6, v[3:4]
	v_add_u32_e32 v8, 0x44, v121
	v_mad_u64_u32 v[6:7], s[4:5], s8, v8, 0
	v_add_co_u32_e32 v69, vcc, v9, v1
	v_mov_b32_e32 v3, v7
	v_addc_co_u32_e32 v70, vcc, v10, v2, vcc
	v_lshlrev_b64 v[1:2], 4, v[4:5]
	v_mad_u64_u32 v[3:4], s[4:5], s9, v8, v[3:4]
	v_add_u32_e32 v8, 0x55, v121
	v_mad_u64_u32 v[4:5], s[4:5], s8, v8, 0
	v_add_co_u32_e32 v71, vcc, v9, v1
	v_mov_b32_e32 v7, v3
	v_mov_b32_e32 v3, v5
	v_addc_co_u32_e32 v72, vcc, v10, v2, vcc
	v_lshlrev_b64 v[1:2], 4, v[6:7]
	v_mad_u64_u32 v[5:6], s[4:5], s9, v8, v[3:4]
	v_add_u32_e32 v8, 0x66, v121
	v_mad_u64_u32 v[6:7], s[4:5], s8, v8, 0
	v_add_co_u32_e32 v73, vcc, v9, v1
	v_mov_b32_e32 v3, v7
	v_addc_co_u32_e32 v74, vcc, v10, v2, vcc
	v_lshlrev_b64 v[1:2], 4, v[4:5]
	v_mad_u64_u32 v[3:4], s[4:5], s9, v8, v[3:4]
	v_add_u32_e32 v8, 0x77, v121
	v_mad_u64_u32 v[4:5], s[4:5], s8, v8, 0
	v_add_co_u32_e32 v75, vcc, v9, v1
	v_mov_b32_e32 v7, v3
	v_mov_b32_e32 v3, v5
	v_addc_co_u32_e32 v76, vcc, v10, v2, vcc
	v_lshlrev_b64 v[1:2], 4, v[6:7]
	v_mad_u64_u32 v[5:6], s[4:5], s9, v8, v[3:4]
	v_add_u32_e32 v8, 0x88, v121
	v_mad_u64_u32 v[6:7], s[4:5], s8, v8, 0
	v_add_co_u32_e32 v77, vcc, v9, v1
	v_mov_b32_e32 v3, v7
	v_addc_co_u32_e32 v78, vcc, v10, v2, vcc
	v_lshlrev_b64 v[1:2], 4, v[4:5]
	v_mad_u64_u32 v[3:4], s[4:5], s9, v8, v[3:4]
	v_add_u32_e32 v8, 0x99, v121
	v_mad_u64_u32 v[4:5], s[4:5], s8, v8, 0
	v_add_co_u32_e32 v79, vcc, v9, v1
	v_mov_b32_e32 v7, v3
	v_mov_b32_e32 v3, v5
	v_addc_co_u32_e32 v80, vcc, v10, v2, vcc
	v_lshlrev_b64 v[1:2], 4, v[6:7]
	v_mad_u64_u32 v[5:6], s[4:5], s9, v8, v[3:4]
	v_add_u32_e32 v8, 0xaa, v121
	v_mad_u64_u32 v[6:7], s[4:5], s8, v8, 0
	v_add_co_u32_e32 v81, vcc, v9, v1
	v_mov_b32_e32 v3, v7
	v_addc_co_u32_e32 v82, vcc, v10, v2, vcc
	v_lshlrev_b64 v[1:2], 4, v[4:5]
	v_mad_u64_u32 v[3:4], s[4:5], s9, v8, v[3:4]
	v_add_u32_e32 v8, 0xbb, v121
	v_mad_u64_u32 v[4:5], s[4:5], s8, v8, 0
	v_add_co_u32_e32 v83, vcc, v9, v1
	v_mov_b32_e32 v7, v3
	v_mov_b32_e32 v3, v5
	v_addc_co_u32_e32 v84, vcc, v10, v2, vcc
	v_lshlrev_b64 v[1:2], 4, v[6:7]
	v_mad_u64_u32 v[5:6], s[4:5], s9, v8, v[3:4]
	v_add_u32_e32 v8, 0xcc, v121
	v_mad_u64_u32 v[6:7], s[4:5], s8, v8, 0
	v_add_co_u32_e32 v85, vcc, v9, v1
	v_mov_b32_e32 v3, v7
	v_addc_co_u32_e32 v86, vcc, v10, v2, vcc
	v_lshlrev_b64 v[1:2], 4, v[4:5]
	v_mad_u64_u32 v[3:4], s[4:5], s9, v8, v[3:4]
	v_add_u32_e32 v8, 0xdd, v121
	v_mad_u64_u32 v[4:5], s[4:5], s8, v8, 0
	v_add_co_u32_e32 v87, vcc, v9, v1
	v_mov_b32_e32 v7, v3
	v_mov_b32_e32 v3, v5
	v_addc_co_u32_e32 v88, vcc, v10, v2, vcc
	v_lshlrev_b64 v[1:2], 4, v[6:7]
	v_mad_u64_u32 v[5:6], s[4:5], s9, v8, v[3:4]
	v_add_u32_e32 v8, 0xee, v121
	v_mad_u64_u32 v[6:7], s[4:5], s8, v8, 0
	v_add_co_u32_e32 v89, vcc, v9, v1
	v_mov_b32_e32 v3, v7
	v_addc_co_u32_e32 v90, vcc, v10, v2, vcc
	v_lshlrev_b64 v[1:2], 4, v[4:5]
	v_mad_u64_u32 v[3:4], s[4:5], s9, v8, v[3:4]
	v_add_u32_e32 v8, 0xff, v121
	v_mad_u64_u32 v[4:5], s[4:5], s8, v8, 0
	v_add_co_u32_e32 v91, vcc, v9, v1
	v_mov_b32_e32 v7, v3
	v_mov_b32_e32 v3, v5
	v_addc_co_u32_e32 v92, vcc, v10, v2, vcc
	v_lshlrev_b64 v[1:2], 4, v[6:7]
	v_mad_u64_u32 v[5:6], s[4:5], s9, v8, v[3:4]
	v_add_u32_e32 v8, 0x110, v121
	v_mad_u64_u32 v[6:7], s[4:5], s8, v8, 0
	v_add_co_u32_e32 v93, vcc, v9, v1
	v_mov_b32_e32 v3, v7
	v_addc_co_u32_e32 v94, vcc, v10, v2, vcc
	v_lshlrev_b64 v[1:2], 4, v[4:5]
	v_mad_u64_u32 v[3:4], s[4:5], s9, v8, v[3:4]
	v_add_co_u32_e32 v95, vcc, v9, v1
	v_mov_b32_e32 v7, v3
	v_addc_co_u32_e32 v96, vcc, v10, v2, vcc
	v_lshlrev_b64 v[1:2], 4, v[6:7]
	v_add_co_u32_e32 v97, vcc, v9, v1
	v_addc_co_u32_e32 v98, vcc, v10, v2, vcc
	global_load_dwordx4 v[1:4], v[13:14], off
	global_load_dwordx4 v[45:48], v[15:16], off
	;; [unrolled: 1-line block ×15, first 2 shown]
                                        ; kill: killed $vgpr83 killed $vgpr84
                                        ; kill: killed $vgpr15 killed $vgpr16
                                        ; kill: killed $vgpr85 killed $vgpr86
                                        ; kill: killed $vgpr69 killed $vgpr70
                                        ; kill: killed $vgpr87 killed $vgpr88
                                        ; kill: killed $vgpr71 killed $vgpr72
                                        ; kill: killed $vgpr89 killed $vgpr90
                                        ; kill: killed $vgpr73 killed $vgpr74
                                        ; kill: killed $vgpr91 killed $vgpr92
                                        ; kill: killed $vgpr75 killed $vgpr76
                                        ; kill: killed $vgpr93 killed $vgpr94
                                        ; kill: killed $vgpr77 killed $vgpr78
                                        ; kill: killed $vgpr79 killed $vgpr80
                                        ; kill: killed $vgpr81 killed $vgpr82
                                        ; kill: killed $vgpr13 killed $vgpr14
	global_load_dwordx4 v[13:16], v[95:96], off
	global_load_dwordx4 v[5:8], v[97:98], off
.LBB0_14:
	s_or_b64 exec, exec, s[0:1]
	s_waitcnt vmcnt(15)
	v_add_f64 v[71:72], v[45:46], v[1:2]
	v_add_f64 v[75:76], v[47:48], v[3:4]
	s_waitcnt vmcnt(3)
	v_add_f64 v[91:92], v[17:18], v[65:66]
	v_add_f64 v[89:90], v[65:66], -v[17:18]
	v_add_f64 v[95:96], v[29:30], v[41:42]
	v_add_f64 v[93:94], v[31:32], v[43:44]
	;; [unrolled: 1-line block ×6, first 2 shown]
	v_add_f64 v[75:76], v[57:58], -v[21:22]
	v_add_f64 v[71:72], v[59:60], -v[23:24]
	s_waitcnt vmcnt(2)
	v_add_f64 v[103:104], v[9:10], v[61:62]
	v_add_f64 v[101:102], v[61:62], -v[9:10]
	v_add_f64 v[81:82], v[25:26], v[49:50]
	v_add_f64 v[77:78], v[27:28], v[51:52]
	;; [unrolled: 1-line block ×5, first 2 shown]
	v_add_f64 v[87:88], v[67:68], -v[19:20]
	v_add_f64 v[61:62], v[63:64], -v[11:12]
	;; [unrolled: 1-line block ×4, first 2 shown]
	s_waitcnt vmcnt(1)
	v_add_f64 v[107:108], v[13:14], v[53:54]
	v_add_f64 v[105:106], v[65:66], v[97:98]
	;; [unrolled: 1-line block ×3, first 2 shown]
	v_add_f64 v[67:68], v[41:42], -v[29:30]
	v_add_f64 v[65:66], v[43:44], -v[31:32]
	v_add_f64 v[97:98], v[11:12], v[63:64]
	v_add_f64 v[63:64], v[37:38], -v[33:34]
	s_mov_b32 s0, 0x910ea3b9
	s_mov_b32 s1, 0xbfeb34fa
	v_add_f64 v[109:110], v[57:58], v[105:106]
	v_add_f64 v[111:112], v[59:60], v[99:100]
	;; [unrolled: 1-line block ×4, first 2 shown]
	v_add_f64 v[59:60], v[39:40], -v[35:36]
	v_add_f64 v[105:106], v[15:16], v[55:56]
	s_mov_b32 s30, 0x370991
	s_mov_b32 s38, 0x5d8e7cdc
	v_add_f64 v[109:110], v[49:50], v[109:110]
	v_add_f64 v[111:112], v[51:52], v[111:112]
	v_add_f64 v[51:52], v[53:54], -v[13:14]
	s_waitcnt vmcnt(0)
	v_add_f64 v[53:54], v[5:6], v[45:46]
	v_add_f64 v[49:50], v[55:56], -v[15:16]
	v_add_f64 v[55:56], v[7:8], v[47:48]
	v_add_f64 v[45:46], v[45:46], -v[5:6]
	v_add_f64 v[47:48], v[47:48], -v[7:8]
	v_add_f64 v[41:42], v[41:42], v[109:110]
	v_add_f64 v[43:44], v[43:44], v[111:112]
	s_mov_b32 s26, 0x75d4884
	s_mov_b32 s22, 0x2b2883cd
	s_mov_b32 s18, 0x3259b75e
	s_mov_b32 s6, 0xc61f0d01
	s_mov_b32 s48, 0x923c349f
	s_mov_b32 s4, 0x6ed5f1bb
	v_add_f64 v[37:38], v[37:38], v[41:42]
	v_add_f64 v[39:40], v[39:40], v[43:44]
	s_mov_b32 s52, 0x4363dd80
	s_mov_b32 s40, 0x7faef3
	s_mov_b32 s31, 0x3fedd6d0
	s_mov_b32 s39, 0x3fd71e95
	s_mov_b32 s37, 0xbfd71e95
	s_mov_b32 s27, 0x3fe7a5f6
	;; [unrolled: 8-line block ×3, first 2 shown]
	v_add_f64 v[29:30], v[29:30], v[33:34]
	v_add_f64 v[31:32], v[31:32], v[35:36]
	v_mul_f64 v[33:34], v[53:54], s[0:1]
	s_mov_b32 s36, s38
	s_mov_b32 s20, s48
	;; [unrolled: 1-line block ×5, first 2 shown]
	v_add_f64 v[25:26], v[25:26], v[29:30]
	v_add_f64 v[27:28], v[27:28], v[31:32]
	s_mov_b32 s42, s52
	v_mul_f64 v[29:30], v[53:54], s[6:7]
	v_mul_f64 v[31:32], v[53:54], s[4:5]
	v_fma_f64 v[39:40], v[47:48], s[42:43], v[33:34]
	v_mul_f64 v[111:112], v[45:46], s[20:21]
	s_mov_b32 s58, 0x2a9d6da3
	v_add_f64 v[21:22], v[21:22], v[25:26]
	v_add_f64 v[23:24], v[23:24], v[27:28]
	v_mul_f64 v[25:26], v[53:54], s[30:31]
	v_mul_f64 v[27:28], v[53:54], s[18:19]
	s_mov_b32 s56, 0x7c9e640b
	s_mov_b32 s50, 0xeb564b22
	;; [unrolled: 1-line block ×4, first 2 shown]
	v_add_f64 v[17:18], v[17:18], v[21:22]
	v_add_f64 v[19:20], v[19:20], v[23:24]
	v_mul_f64 v[21:22], v[53:54], s[26:27]
	v_mul_f64 v[23:24], v[53:54], s[22:23]
	s_mov_b32 s59, 0x3fe58eea
	s_mov_b32 s35, 0xbfe58eea
	;; [unrolled: 1-line block ×4, first 2 shown]
	v_add_f64 v[9:10], v[9:10], v[17:18]
	v_add_f64 v[11:12], v[11:12], v[19:20]
	s_mov_b32 s51, 0x3fefdd0d
	s_mov_b32 s25, 0xbfefdd0d
	;; [unrolled: 1-line block ×6, first 2 shown]
	v_add_f64 v[9:10], v[13:14], v[9:10]
	v_add_f64 v[11:12], v[15:16], v[11:12]
	s_mov_b32 s24, s50
	s_mov_b32 s16, s46
	;; [unrolled: 1-line block ×5, first 2 shown]
	v_fma_f64 v[17:18], v[47:48], s[38:39], v[25:26]
	v_add_f64 v[5:6], v[5:6], v[9:10]
	v_add_f64 v[7:8], v[7:8], v[11:12]
	v_mul_f64 v[9:10], v[53:54], s[40:41]
	v_fma_f64 v[11:12], v[47:48], s[52:53], v[33:34]
	v_mul_f64 v[33:34], v[45:46], s[36:37]
	v_fma_f64 v[19:20], v[47:48], s[36:37], v[25:26]
	v_fma_f64 v[25:26], v[47:48], s[58:59], v[21:22]
	;; [unrolled: 1-line block ×11, first 2 shown]
	v_mul_f64 v[41:42], v[45:46], s[34:35]
	v_mul_f64 v[43:44], v[45:46], s[28:29]
	v_fma_f64 v[122:123], v[47:48], s[54:55], v[9:10]
	v_fma_f64 v[9:10], v[47:48], s[44:45], v[9:10]
	;; [unrolled: 1-line block ×3, first 2 shown]
	v_fma_f64 v[33:34], v[55:56], s[30:31], -v[33:34]
	v_mul_f64 v[109:110], v[45:46], s[24:25]
	v_mul_f64 v[115:116], v[45:46], s[16:17]
	v_mul_f64 v[117:118], v[45:46], s[42:43]
	v_mul_f64 v[45:46], v[45:46], s[44:45]
	v_fma_f64 v[124:125], v[55:56], s[6:7], v[111:112]
	v_mul_f64 v[150:151], v[107:108], s[26:27]
	v_mul_f64 v[152:153], v[51:52], s[34:35]
	v_add_f64 v[17:18], v[1:2], v[17:18]
	v_add_f64 v[138:139], v[3:4], v[33:34]
	v_fma_f64 v[126:127], v[55:56], s[4:5], v[115:116]
	v_add_f64 v[144:145], v[1:2], v[35:36]
	v_fma_f64 v[134:135], v[55:56], s[40:41], v[45:46]
	v_fma_f64 v[136:137], v[55:56], s[40:41], -v[45:46]
	v_add_f64 v[45:46], v[3:4], v[47:48]
	v_add_f64 v[154:155], v[1:2], v[13:14]
	;; [unrolled: 1-line block ×5, first 2 shown]
	v_fma_f64 v[13:14], v[49:50], s[58:59], v[150:151]
	v_fma_f64 v[15:16], v[105:106], s[26:27], v[152:153]
	v_mul_f64 v[27:28], v[103:104], s[22:23]
	v_mul_f64 v[124:125], v[101:102], s[28:29]
	v_fma_f64 v[53:54], v[55:56], s[26:27], v[41:42]
	v_fma_f64 v[119:120], v[55:56], s[18:19], v[109:110]
	v_fma_f64 v[109:110], v[55:56], s[18:19], -v[109:110]
	v_fma_f64 v[128:129], v[55:56], s[4:5], -v[115:116]
	v_fma_f64 v[130:131], v[55:56], s[0:1], v[117:118]
	v_fma_f64 v[132:133], v[55:56], s[0:1], -v[117:118]
	v_add_f64 v[117:118], v[1:2], v[29:30]
	v_add_f64 v[115:116], v[3:4], v[126:127]
	;; [unrolled: 1-line block ×4, first 2 shown]
	v_fma_f64 v[17:18], v[61:62], s[56:57], v[27:28]
	v_fma_f64 v[29:30], v[97:98], s[22:23], v[124:125]
	v_mul_f64 v[126:127], v[91:92], s[18:19]
	v_mul_f64 v[162:163], v[89:90], s[24:25]
	v_fma_f64 v[113:114], v[55:56], s[22:23], v[43:44]
	v_fma_f64 v[111:112], v[55:56], s[6:7], -v[111:112]
	v_add_f64 v[140:141], v[3:4], v[53:54]
	v_add_f64 v[160:161], v[3:4], v[109:110]
	;; [unrolled: 1-line block ×6, first 2 shown]
	v_fma_f64 v[15:16], v[87:88], s[50:51], v[126:127]
	v_fma_f64 v[17:18], v[85:86], s[18:19], v[162:163]
	v_mul_f64 v[29:30], v[73:74], s[6:7]
	v_mul_f64 v[31:32], v[75:76], s[20:21]
	v_fma_f64 v[41:42], v[55:56], s[26:27], -v[41:42]
	v_fma_f64 v[43:44], v[55:56], s[22:23], -v[43:44]
	v_add_f64 v[146:147], v[3:4], v[113:114]
	v_add_f64 v[156:157], v[3:4], v[119:120]
	;; [unrolled: 1-line block ×8, first 2 shown]
	v_fma_f64 v[15:16], v[71:72], s[48:49], v[29:30]
	v_fma_f64 v[17:18], v[69:70], s[6:7], v[31:32]
	v_mul_f64 v[122:123], v[81:82], s[4:5]
	v_mul_f64 v[128:129], v[83:84], s[16:17]
	v_add_f64 v[19:20], v[1:2], v[19:20]
	v_add_f64 v[25:26], v[1:2], v[25:26]
	;; [unrolled: 1-line block ×12, first 2 shown]
	v_fma_f64 v[1:2], v[49:50], s[34:35], v[150:151]
	v_fma_f64 v[3:4], v[105:106], s[26:27], -v[152:153]
	v_add_f64 v[9:10], v[15:16], v[11:12]
	v_add_f64 v[11:12], v[17:18], v[13:14]
	v_fma_f64 v[13:14], v[79:80], s[46:47], v[122:123]
	v_fma_f64 v[15:16], v[77:78], s[4:5], v[128:129]
	v_mul_f64 v[17:18], v[95:96], s[0:1]
	v_mul_f64 v[130:131], v[67:68], s[42:43]
	v_add_f64 v[1:2], v[1:2], v[19:20]
	v_add_f64 v[3:4], v[3:4], v[138:139]
	v_fma_f64 v[19:20], v[61:62], s[28:29], v[27:28]
	v_fma_f64 v[27:28], v[97:98], s[22:23], -v[124:125]
	v_add_f64 v[9:10], v[13:14], v[9:10]
	v_add_f64 v[11:12], v[15:16], v[11:12]
	v_fma_f64 v[13:14], v[65:66], s[52:53], v[17:18]
	v_fma_f64 v[15:16], v[93:94], s[0:1], v[130:131]
	v_mul_f64 v[124:125], v[99:100], s[40:41]
	v_mul_f64 v[132:133], v[63:64], s[44:45]
	v_add_f64 v[1:2], v[19:20], v[1:2]
	v_add_f64 v[3:4], v[27:28], v[3:4]
	;; [unrolled: 10-line block ×20, first 2 shown]
	v_fma_f64 v[126:127], v[59:60], s[42:43], v[126:127]
	v_fma_f64 v[128:129], v[57:58], s[0:1], -v[136:137]
	v_add_f64 v[29:30], v[132:133], v[29:30]
	v_add_f64 v[31:32], v[134:135], v[31:32]
	v_fma_f64 v[130:131], v[71:72], s[56:57], v[142:143]
	v_mul_f64 v[134:135], v[81:82], s[0:1]
	v_fma_f64 v[132:133], v[69:70], s[22:23], v[144:145]
	v_mul_f64 v[136:137], v[83:84], s[42:43]
	v_add_f64 v[21:22], v[126:127], v[21:22]
	v_fma_f64 v[126:127], v[49:50], s[44:45], v[138:139]
	v_mul_f64 v[138:139], v[95:96], s[4:5]
	v_add_f64 v[23:24], v[128:129], v[23:24]
	v_add_f64 v[29:30], v[130:131], v[29:30]
	v_fma_f64 v[130:131], v[79:80], s[52:53], v[134:135]
	v_fma_f64 v[128:129], v[105:106], s[40:41], -v[140:141]
	v_add_f64 v[31:32], v[132:133], v[31:32]
	v_fma_f64 v[132:133], v[77:78], s[0:1], v[136:137]
	v_mul_f64 v[140:141], v[67:68], s[46:47]
	v_add_f64 v[126:127], v[126:127], v[158:159]
	v_fma_f64 v[122:123], v[61:62], s[48:49], v[122:123]
	v_mul_f64 v[150:151], v[99:100], s[26:27]
	v_add_f64 v[29:30], v[130:131], v[29:30]
	v_fma_f64 v[130:131], v[65:66], s[16:17], v[138:139]
	v_add_f64 v[128:129], v[128:129], v[160:161]
	v_fma_f64 v[124:125], v[97:98], s[6:7], -v[124:125]
	v_add_f64 v[31:32], v[132:133], v[31:32]
	v_fma_f64 v[132:133], v[93:94], s[4:5], v[140:141]
	v_mul_f64 v[152:153], v[63:64], s[58:59]
	v_add_f64 v[122:123], v[122:123], v[126:127]
	v_fma_f64 v[126:127], v[87:88], s[38:39], v[146:147]
	v_add_f64 v[29:30], v[130:131], v[29:30]
	v_fma_f64 v[130:131], v[59:60], s[34:35], v[150:151]
	v_mul_f64 v[146:147], v[107:108], s[0:1]
	v_add_f64 v[124:125], v[124:125], v[128:129]
	v_fma_f64 v[128:129], v[85:86], s[30:31], -v[148:149]
	v_add_f64 v[31:32], v[132:133], v[31:32]
	v_fma_f64 v[132:133], v[57:58], s[26:27], v[152:153]
	v_mul_f64 v[148:149], v[51:52], s[52:53]
	v_add_f64 v[122:123], v[126:127], v[122:123]
	v_fma_f64 v[126:127], v[71:72], s[28:29], v[142:143]
	v_add_f64 v[29:30], v[130:131], v[29:30]
	v_fma_f64 v[130:131], v[49:50], s[42:43], v[146:147]
	v_mul_f64 v[142:143], v[103:104], s[26:27]
	;; [unrolled: 10-line block ×19, first 2 shown]
	v_add_f64 v[124:125], v[140:141], v[124:125]
	v_fma_f64 v[140:141], v[105:106], s[22:23], -v[144:145]
	v_add_f64 v[55:56], v[128:129], v[55:56]
	v_fma_f64 v[128:129], v[69:70], s[30:31], v[148:149]
	v_mul_f64 v[144:145], v[83:84], s[44:45]
	v_add_f64 v[45:46], v[138:139], v[45:46]
	v_add_f64 v[53:54], v[126:127], v[53:54]
	v_fma_f64 v[126:127], v[79:80], s[54:55], v[142:143]
	v_mul_f64 v[138:139], v[95:96], s[26:27]
	v_add_f64 v[47:48], v[140:141], v[47:48]
	v_mul_f64 v[140:141], v[67:68], s[58:59]
	v_add_f64 v[55:56], v[128:129], v[55:56]
	v_fma_f64 v[128:129], v[77:78], s[40:41], v[144:145]
	v_mul_f64 v[107:108], v[107:108], s[30:31]
	v_mul_f64 v[51:52], v[51:52], s[38:39]
	v_add_f64 v[53:54], v[126:127], v[53:54]
	v_fma_f64 v[126:127], v[65:66], s[34:35], v[138:139]
	v_mul_f64 v[103:104], v[103:104], s[0:1]
	v_mul_f64 v[101:102], v[101:102], s[42:43]
	;; [unrolled: 1-line block ×3, first 2 shown]
	v_add_f64 v[55:56], v[128:129], v[55:56]
	v_fma_f64 v[128:129], v[93:94], s[26:27], v[140:141]
	v_fma_f64 v[130:131], v[61:62], s[24:25], v[130:131]
	v_fma_f64 v[132:133], v[97:98], s[18:19], -v[132:133]
	v_add_f64 v[53:54], v[126:127], v[53:54]
	v_fma_f64 v[126:127], v[49:50], s[36:37], v[107:108]
	v_fma_f64 v[49:50], v[49:50], s[38:39], v[107:108]
	v_mul_f64 v[89:90], v[89:90], s[58:59]
	v_mul_f64 v[73:74], v[73:74], s[4:5]
	v_add_f64 v[55:56], v[128:129], v[55:56]
	v_fma_f64 v[128:129], v[105:106], s[30:31], v[51:52]
	v_fma_f64 v[51:52], v[105:106], s[30:31], -v[51:52]
	v_add_f64 v[45:46], v[130:131], v[45:46]
	v_add_f64 v[37:38], v[126:127], v[37:38]
	;; [unrolled: 1-line block ×3, first 2 shown]
	v_fma_f64 v[49:50], v[61:62], s[52:53], v[103:104]
	v_fma_f64 v[61:62], v[61:62], s[42:43], v[103:104]
	v_add_f64 v[47:48], v[132:133], v[47:48]
	v_add_f64 v[39:40], v[128:129], v[39:40]
	;; [unrolled: 1-line block ×3, first 2 shown]
	v_fma_f64 v[51:52], v[97:98], s[0:1], v[101:102]
	v_fma_f64 v[97:98], v[97:98], s[0:1], -v[101:102]
	v_fma_f64 v[130:131], v[87:88], s[46:47], v[150:151]
	v_add_f64 v[37:38], v[49:50], v[37:38]
	v_fma_f64 v[49:50], v[87:88], s[34:35], v[91:92]
	v_fma_f64 v[132:133], v[85:86], s[4:5], -v[152:153]
	v_add_f64 v[41:42], v[61:62], v[41:42]
	v_fma_f64 v[87:88], v[87:88], s[58:59], v[91:92]
	v_add_f64 v[39:40], v[51:52], v[39:40]
	v_add_f64 v[43:44], v[97:98], v[43:44]
	v_fma_f64 v[51:52], v[85:86], s[26:27], v[89:90]
	v_fma_f64 v[85:86], v[85:86], s[26:27], -v[89:90]
	v_add_f64 v[37:38], v[49:50], v[37:38]
	v_mul_f64 v[49:50], v[75:76], s[16:17]
	v_fma_f64 v[146:147], v[71:72], s[36:37], v[146:147]
	v_fma_f64 v[148:149], v[69:70], s[30:31], -v[148:149]
	v_add_f64 v[41:42], v[87:88], v[41:42]
	v_fma_f64 v[134:135], v[59:60], s[56:57], v[134:135]
	v_add_f64 v[39:40], v[51:52], v[39:40]
	v_add_f64 v[43:44], v[85:86], v[43:44]
	v_fma_f64 v[85:86], v[71:72], s[46:47], v[73:74]
	v_fma_f64 v[71:72], v[71:72], s[16:17], v[73:74]
	;; [unrolled: 1-line block ×3, first 2 shown]
	v_fma_f64 v[49:50], v[69:70], s[4:5], -v[49:50]
	v_mul_f64 v[69:70], v[81:82], s[22:23]
	v_mul_f64 v[81:82], v[83:84], s[56:57]
	v_fma_f64 v[136:137], v[57:58], s[22:23], -v[136:137]
	v_add_f64 v[130:131], v[130:131], v[45:46]
	v_add_f64 v[132:133], v[132:133], v[47:48]
	v_fma_f64 v[107:108], v[77:78], s[40:41], -v[144:145]
	v_add_f64 v[37:38], v[85:86], v[37:38]
	v_add_f64 v[39:40], v[73:74], v[39:40]
	v_add_f64 v[41:42], v[71:72], v[41:42]
	v_add_f64 v[43:44], v[49:50], v[43:44]
	v_fma_f64 v[49:50], v[79:80], s[28:29], v[69:70]
	v_fma_f64 v[71:72], v[77:78], s[22:23], v[81:82]
	;; [unrolled: 1-line block ×3, first 2 shown]
	v_fma_f64 v[73:74], v[77:78], s[22:23], -v[81:82]
	v_mul_f64 v[77:78], v[95:96], s[6:7]
	v_mul_f64 v[67:68], v[67:68], s[20:21]
	v_add_f64 v[45:46], v[134:135], v[122:123]
	v_add_f64 v[47:48], v[136:137], v[124:125]
	;; [unrolled: 1-line block ×4, first 2 shown]
	v_fma_f64 v[105:106], v[79:80], s[44:45], v[142:143]
	v_mul_f64 v[61:62], v[99:100], s[6:7]
	v_mul_f64 v[75:76], v[63:64], s[20:21]
	v_fma_f64 v[83:84], v[65:66], s[58:59], v[138:139]
	v_add_f64 v[37:38], v[49:50], v[37:38]
	v_add_f64 v[39:40], v[71:72], v[39:40]
	;; [unrolled: 1-line block ×4, first 2 shown]
	v_fma_f64 v[49:50], v[65:66], s[48:49], v[77:78]
	v_fma_f64 v[69:70], v[93:94], s[6:7], v[67:68]
	;; [unrolled: 1-line block ×3, first 2 shown]
	v_fma_f64 v[67:68], v[93:94], s[6:7], -v[67:68]
	v_mul_f64 v[71:72], v[99:100], s[18:19]
	v_mul_f64 v[63:64], v[63:64], s[50:51]
	v_add_f64 v[101:102], v[105:106], v[122:123]
	v_add_f64 v[103:104], v[107:108], v[124:125]
	v_fma_f64 v[89:90], v[93:94], s[26:27], -v[140:141]
	v_fma_f64 v[51:52], v[59:60], s[48:49], v[61:62]
	v_fma_f64 v[61:62], v[59:60], s[20:21], v[61:62]
	v_add_f64 v[65:66], v[65:66], v[41:42]
	v_add_f64 v[42:43], v[67:68], v[43:44]
	v_fma_f64 v[67:68], v[59:60], s[24:25], v[71:72]
	v_fma_f64 v[77:78], v[57:58], s[18:19], v[63:64]
	;; [unrolled: 1-line block ×3, first 2 shown]
	v_fma_f64 v[63:64], v[57:58], s[18:19], -v[63:64]
	v_fma_f64 v[87:88], v[57:58], s[6:7], v[75:76]
	v_add_f64 v[79:80], v[83:84], v[101:102]
	v_add_f64 v[81:82], v[89:90], v[103:104]
	v_fma_f64 v[73:74], v[57:58], s[6:7], -v[75:76]
	v_add_f64 v[75:76], v[49:50], v[37:38]
	v_add_f64 v[69:70], v[69:70], v[39:40]
	;; [unrolled: 1-line block ×4, first 2 shown]
	v_mul_u32_u24_e32 v42, 0x770, v121
	v_lshlrev_b32_e32 v37, 4, v177
	v_add_f64 v[38:39], v[51:52], v[53:54]
	v_add_f64 v[40:41], v[87:88], v[55:56]
	v_add3_u32 v42, 0, v42, v37
	v_add_f64 v[49:50], v[61:62], v[79:80]
	v_add_f64 v[51:52], v[73:74], v[81:82]
	;; [unrolled: 1-line block ×4, first 2 shown]
	ds_write_b128 v42, v[5:8]
	ds_write_b128 v42, v[9:12] offset:112
	ds_write_b128 v42, v[17:20] offset:224
	;; [unrolled: 1-line block ×16, first 2 shown]
	s_waitcnt lgkmcnt(0)
	s_barrier
	s_and_saveexec_b64 s[62:63], s[60:61]
	s_cbranch_execz .LBB0_16
; %bb.15:
	v_mul_lo_u16_e32 v1, 31, v121
	v_lshrrev_b16_e32 v1, 9, v1
	v_mul_lo_u16_e32 v1, 17, v1
	v_sub_u16_e32 v178, v121, v1
	v_mov_b32_e32 v1, 8
	v_lshlrev_b32_sdwa v5, v1, v178 dst_sel:DWORD dst_unused:UNUSED_PAD src0_sel:DWORD src1_sel:BYTE_0
	global_load_dwordx4 v[1:4], v5, s[14:15] offset:112
	global_load_dwordx4 v[9:12], v5, s[14:15] offset:128
	;; [unrolled: 1-line block ×14, first 2 shown]
	global_load_dwordx4 v[51:54], v5, s[14:15]
	global_load_dwordx4 v[65:68], v5, s[14:15] offset:240
	v_mul_u32_u24_e32 v5, 0x70, v121
	v_add3_u32 v37, 0, v5, v37
	ds_read_b128 v[61:64], v37 offset:15232
	ds_read_b128 v[73:76], v37 offset:17136
	;; [unrolled: 1-line block ×14, first 2 shown]
	ds_read_b128 v[5:8], v37
	ds_read_b128 v[143:146], v37 offset:1904
	ds_read_b128 v[147:150], v37 offset:30464
	s_waitcnt vmcnt(15) lgkmcnt(14)
	v_mul_f64 v[55:56], v[61:62], v[3:4]
	s_waitcnt vmcnt(14)
	v_mul_f64 v[77:78], v[73:74], v[11:12]
	v_mul_f64 v[3:4], v[63:64], v[3:4]
	s_waitcnt vmcnt(12) lgkmcnt(12)
	v_mul_f64 v[135:136], v[99:100], v[19:20]
	s_waitcnt vmcnt(11)
	v_mul_f64 v[141:142], v[95:96], v[23:24]
	v_mul_f64 v[23:24], v[97:98], v[23:24]
	;; [unrolled: 1-line block ×3, first 2 shown]
	s_waitcnt vmcnt(8) lgkmcnt(8)
	v_mul_f64 v[155:156], v[115:116], v[35:36]
	v_mul_f64 v[35:36], v[117:118], v[35:36]
	s_waitcnt vmcnt(6) lgkmcnt(7)
	v_mul_f64 v[159:160], v[119:120], v[44:45]
	s_waitcnt vmcnt(5) lgkmcnt(6)
	v_mul_f64 v[161:162], v[123:124], v[48:49]
	v_mul_f64 v[165:166], v[125:126], v[48:49]
	;; [unrolled: 1-line block ×3, first 2 shown]
	s_waitcnt vmcnt(3) lgkmcnt(5)
	v_mul_f64 v[169:170], v[127:128], v[71:72]
	s_waitcnt vmcnt(1) lgkmcnt(1)
	v_mul_f64 v[48:49], v[143:144], v[53:54]
	;; [unrolled: 2-line block ×3, first 2 shown]
	v_mul_f64 v[171:172], v[137:138], v[85:86]
	v_mul_f64 v[181:182], v[145:146], v[53:54]
	;; [unrolled: 1-line block ×3, first 2 shown]
	v_fma_f64 v[97:98], v[97:98], v[21:22], v[141:142]
	v_mul_f64 v[157:158], v[111:112], v[40:41]
	v_mul_f64 v[40:41], v[113:114], v[40:41]
	v_fma_f64 v[141:142], v[145:146], v[51:52], v[48:49]
	v_fma_f64 v[49:50], v[149:150], v[65:66], v[175:176]
	v_mul_f64 v[163:164], v[131:132], v[59:60]
	v_mul_f64 v[167:168], v[133:134], v[59:60]
	;; [unrolled: 1-line block ×4, first 2 shown]
	v_fma_f64 v[79:80], v[75:76], v[9:10], v[77:78]
	v_fma_f64 v[87:88], v[61:62], v[1:2], -v[3:4]
	v_fma_f64 v[75:76], v[101:102], v[17:18], v[135:136]
	v_fma_f64 v[61:62], v[119:120], v[42:43], -v[44:45]
	v_fma_f64 v[119:120], v[125:126], v[46:47], v[161:162]
	v_fma_f64 v[125:126], v[129:130], v[69:70], v[169:170]
	;; [unrolled: 1-line block ×3, first 2 shown]
	v_fma_f64 v[135:136], v[143:144], v[51:52], -v[181:182]
	v_fma_f64 v[51:52], v[147:148], v[65:66], -v[183:184]
	v_add_f64 v[175:176], v[141:142], v[49:50]
	v_mul_f64 v[151:152], v[103:104], v[27:28]
	v_mul_f64 v[27:28], v[105:106], v[27:28]
	v_mul_f64 v[153:154], v[107:108], v[31:32]
	v_fma_f64 v[85:86], v[63:64], v[1:2], v[55:56]
	v_fma_f64 v[67:68], v[115:116], v[33:34], -v[35:36]
	v_fma_f64 v[115:116], v[111:112], v[38:39], -v[40:41]
	v_fma_f64 v[55:56], v[133:134], v[57:58], v[163:164]
	v_fma_f64 v[65:66], v[131:132], v[57:58], -v[167:168]
	v_fma_f64 v[131:132], v[127:128], v[69:70], -v[173:174]
	;; [unrolled: 1-line block ×3, first 2 shown]
	v_add_f64 v[169:170], v[125:126], v[53:54]
	v_add_f64 v[111:112], v[135:136], -v[51:52]
	v_mul_f64 v[1:2], v[175:176], s[40:41]
	v_mul_f64 v[93:94], v[89:90], v[15:16]
	;; [unrolled: 1-line block ×4, first 2 shown]
	v_fma_f64 v[81:82], v[73:74], v[9:10], -v[11:12]
	v_fma_f64 v[73:74], v[103:104], v[25:26], -v[27:28]
	v_fma_f64 v[103:104], v[109:110], v[29:30], v[153:154]
	v_fma_f64 v[113:114], v[113:114], v[38:39], v[157:158]
	;; [unrolled: 1-line block ×3, first 2 shown]
	v_fma_f64 v[121:122], v[123:124], v[46:47], -v[165:166]
	v_add_f64 v[173:174], v[119:120], v[55:56]
	v_add_f64 v[109:110], v[131:132], -v[57:58]
	v_mul_f64 v[3:4], v[169:170], s[30:31]
	v_fma_f64 v[9:10], v[111:112], s[54:55], v[1:2]
	v_mul_f64 v[19:20], v[101:102], v[19:20]
	v_fma_f64 v[91:92], v[91:92], v[13:14], v[93:94]
	v_fma_f64 v[93:94], v[89:90], v[13:14], -v[15:16]
	v_fma_f64 v[71:72], v[105:106], v[25:26], v[151:152]
	v_fma_f64 v[63:64], v[117:118], v[33:34], v[155:156]
	v_fma_f64 v[105:106], v[107:108], v[29:30], -v[31:32]
	v_add_f64 v[171:172], v[113:114], v[59:60]
	v_add_f64 v[107:108], v[121:122], -v[65:66]
	v_mul_f64 v[11:12], v[173:174], s[0:1]
	v_fma_f64 v[13:14], v[109:110], s[36:37], v[3:4]
	v_add_f64 v[9:10], v[7:8], v[9:10]
	v_add_f64 v[155:156], v[141:142], -v[49:50]
	v_fma_f64 v[77:78], v[99:100], v[17:18], -v[19:20]
	v_add_f64 v[143:144], v[103:104], v[63:64]
	v_add_f64 v[101:102], v[115:116], -v[61:62]
	v_mul_f64 v[15:16], v[171:172], s[26:27]
	v_fma_f64 v[17:18], v[107:108], s[52:53], v[11:12]
	v_add_f64 v[151:152], v[125:126], -v[53:54]
	v_add_f64 v[9:10], v[13:14], v[9:10]
	v_add_f64 v[149:150], v[135:136], v[51:52]
	v_mul_f64 v[19:20], v[155:156], s[44:45]
	v_fma_f64 v[99:100], v[95:96], v[21:22], -v[23:24]
	v_add_f64 v[137:138], v[97:98], v[71:72]
	v_add_f64 v[95:96], v[105:106], -v[67:68]
	v_mul_f64 v[13:14], v[143:144], s[4:5]
	v_fma_f64 v[21:22], v[101:102], s[34:35], v[15:16]
	v_add_f64 v[9:10], v[17:18], v[9:10]
	v_add_f64 v[157:158], v[119:120], -v[55:56]
	v_add_f64 v[147:148], v[131:132], v[57:58]
	v_mul_f64 v[23:24], v[151:152], s[38:39]
	v_fma_f64 v[27:28], v[149:150], s[40:41], v[19:20]
	v_add_f64 v[89:90], v[99:100], -v[73:74]
	v_add_f64 v[159:160], v[113:114], -v[59:60]
	v_mul_f64 v[17:18], v[137:138], s[22:23]
	v_fma_f64 v[25:26], v[95:96], s[46:47], v[13:14]
	v_add_f64 v[9:10], v[21:22], v[9:10]
	v_add_f64 v[145:146], v[121:122], v[65:66]
	v_mul_f64 v[31:32], v[157:158], s[42:43]
	v_fma_f64 v[35:36], v[147:148], s[30:31], v[23:24]
	v_add_f64 v[27:28], v[5:6], v[27:28]
	v_fma_f64 v[1:2], v[111:112], s[44:45], v[1:2]
	v_fma_f64 v[19:20], v[149:150], s[40:41], -v[19:20]
	v_add_f64 v[153:154], v[103:104], -v[63:64]
	v_add_f64 v[127:128], v[115:116], v[61:62]
	v_fma_f64 v[33:34], v[89:90], s[28:29], v[17:18]
	v_add_f64 v[9:10], v[25:26], v[9:10]
	v_mul_f64 v[25:26], v[159:160], s[58:59]
	v_fma_f64 v[39:40], v[145:146], s[0:1], v[31:32]
	v_fma_f64 v[3:4], v[109:110], s[38:39], v[3:4]
	v_add_f64 v[27:28], v[35:36], v[27:28]
	v_add_f64 v[1:2], v[7:8], v[1:2]
	v_fma_f64 v[23:24], v[147:148], s[30:31], -v[23:24]
	v_add_f64 v[19:20], v[5:6], v[19:20]
	v_add_f64 v[123:124], v[91:92], v[75:76]
	v_add_f64 v[139:140], v[97:98], -v[71:72]
	v_add_f64 v[9:10], v[33:34], v[9:10]
	v_add_f64 v[167:168], v[105:106], v[67:68]
	v_mul_f64 v[33:34], v[153:154], s[16:17]
	v_fma_f64 v[35:36], v[127:128], s[26:27], v[25:26]
	v_add_f64 v[27:28], v[39:40], v[27:28]
	v_fma_f64 v[11:12], v[107:108], s[42:43], v[11:12]
	v_add_f64 v[1:2], v[3:4], v[1:2]
	v_fma_f64 v[31:32], v[145:146], s[0:1], -v[31:32]
	v_add_f64 v[19:20], v[23:24], v[19:20]
	v_add_f64 v[117:118], v[85:86], v[79:80]
	v_add_f64 v[83:84], v[93:94], -v[77:78]
	v_mul_f64 v[29:30], v[123:124], s[6:7]
	v_add_f64 v[165:166], v[99:100], v[73:74]
	v_mul_f64 v[3:4], v[139:140], s[56:57]
	v_fma_f64 v[39:40], v[167:168], s[4:5], v[33:34]
	v_add_f64 v[23:24], v[35:36], v[27:28]
	v_fma_f64 v[15:16], v[101:102], s[58:59], v[15:16]
	v_add_f64 v[1:2], v[11:12], v[1:2]
	v_fma_f64 v[25:26], v[127:128], s[26:27], -v[25:26]
	v_add_f64 v[19:20], v[31:32], v[19:20]
	v_add_f64 v[69:70], v[87:88], -v[81:82]
	v_add_f64 v[133:134], v[91:92], -v[75:76]
	v_mul_f64 v[21:22], v[117:118], s[18:19]
	v_fma_f64 v[37:38], v[83:84], s[48:49], v[29:30]
	v_fma_f64 v[27:28], v[165:166], s[22:23], v[3:4]
	v_add_f64 v[23:24], v[39:40], v[23:24]
	v_fma_f64 v[13:14], v[95:96], s[16:17], v[13:14]
	v_add_f64 v[1:2], v[15:16], v[1:2]
	v_fma_f64 v[33:34], v[167:168], s[4:5], -v[33:34]
	v_add_f64 v[19:20], v[25:26], v[19:20]
	v_add_f64 v[163:164], v[93:94], v[77:78]
	v_mul_f64 v[11:12], v[133:134], s[20:21]
	v_fma_f64 v[17:18], v[89:90], s[56:57], v[17:18]
	v_add_f64 v[23:24], v[27:28], v[23:24]
	v_add_f64 v[9:10], v[37:38], v[9:10]
	;; [unrolled: 1-line block ×3, first 2 shown]
	v_fma_f64 v[13:14], v[69:70], s[24:25], v[21:22]
	v_fma_f64 v[27:28], v[165:166], s[22:23], -v[3:4]
	v_add_f64 v[19:20], v[33:34], v[19:20]
	v_fma_f64 v[31:32], v[163:164], s[6:7], v[11:12]
	v_fma_f64 v[29:30], v[83:84], s[20:21], v[29:30]
	v_add_f64 v[129:130], v[85:86], -v[79:80]
	v_mul_f64 v[41:42], v[173:174], s[18:19]
	v_add_f64 v[17:18], v[17:18], v[1:2]
	v_add_f64 v[3:4], v[13:14], v[9:10]
	v_fma_f64 v[9:10], v[163:164], s[6:7], -v[11:12]
	v_add_f64 v[11:12], v[27:28], v[19:20]
	v_mul_f64 v[19:20], v[175:176], s[0:1]
	v_mul_f64 v[27:28], v[169:170], s[22:23]
	v_add_f64 v[161:162], v[87:88], v[81:82]
	v_mul_f64 v[15:16], v[129:130], s[50:51]
	v_add_f64 v[17:18], v[29:30], v[17:18]
	v_mul_f64 v[37:38], v[151:152], s[56:57]
	v_mul_f64 v[45:46], v[171:172], s[4:5]
	v_add_f64 v[9:10], v[9:10], v[11:12]
	v_fma_f64 v[29:30], v[111:112], s[52:53], v[19:20]
	v_mul_f64 v[11:12], v[155:156], s[42:43]
	v_fma_f64 v[43:44], v[109:110], s[28:29], v[27:28]
	v_fma_f64 v[183:184], v[107:108], s[50:51], v[41:42]
	v_fma_f64 v[19:20], v[111:112], s[42:43], v[19:20]
	v_fma_f64 v[25:26], v[161:162], s[18:19], v[15:16]
	v_add_f64 v[23:24], v[31:32], v[23:24]
	v_mul_f64 v[33:34], v[143:144], s[30:31]
	v_add_f64 v[29:30], v[7:8], v[29:30]
	v_fma_f64 v[39:40], v[149:150], s[0:1], v[11:12]
	v_fma_f64 v[11:12], v[149:150], s[0:1], -v[11:12]
	v_mul_f64 v[179:180], v[157:158], s[24:25]
	v_fma_f64 v[181:182], v[147:148], s[22:23], v[37:38]
	v_fma_f64 v[27:28], v[109:110], s[56:57], v[27:28]
	v_add_f64 v[19:20], v[7:8], v[19:20]
	v_fma_f64 v[37:38], v[147:148], s[22:23], -v[37:38]
	v_add_f64 v[29:30], v[43:44], v[29:30]
	v_add_f64 v[39:40], v[5:6], v[39:40]
	v_fma_f64 v[43:44], v[101:102], s[16:17], v[45:46]
	v_add_f64 v[11:12], v[5:6], v[11:12]
	v_add_f64 v[1:2], v[25:26], v[23:24]
	v_fma_f64 v[23:24], v[161:162], s[18:19], -v[15:16]
	v_mul_f64 v[15:16], v[137:138], s[40:41]
	v_fma_f64 v[47:48], v[95:96], s[38:39], v[33:34]
	v_add_f64 v[29:30], v[183:184], v[29:30]
	v_mul_f64 v[185:186], v[159:160], s[46:47]
	v_fma_f64 v[187:188], v[145:146], s[18:19], v[179:180]
	v_add_f64 v[39:40], v[181:182], v[39:40]
	v_fma_f64 v[41:42], v[107:108], s[24:25], v[41:42]
	v_add_f64 v[19:20], v[27:28], v[19:20]
	v_add_f64 v[11:12], v[37:38], v[11:12]
	v_fma_f64 v[35:36], v[89:90], s[54:55], v[15:16]
	v_add_f64 v[27:28], v[43:44], v[29:30]
	v_fma_f64 v[29:30], v[145:146], s[18:19], -v[179:180]
	v_mul_f64 v[181:182], v[153:154], s[36:37]
	v_fma_f64 v[183:184], v[127:128], s[4:5], v[185:186]
	v_add_f64 v[39:40], v[187:188], v[39:40]
	v_fma_f64 v[45:46], v[101:102], s[46:47], v[45:46]
	v_add_f64 v[19:20], v[41:42], v[19:20]
	v_fma_f64 v[41:42], v[127:128], s[4:5], -v[185:186]
	v_add_f64 v[27:28], v[47:48], v[27:28]
	v_add_f64 v[11:12], v[29:30], v[11:12]
	v_mul_f64 v[37:38], v[139:140], s[44:45]
	v_fma_f64 v[43:44], v[167:168], s[30:31], v[181:182]
	v_add_f64 v[39:40], v[183:184], v[39:40]
	v_fma_f64 v[33:34], v[95:96], s[36:37], v[33:34]
	v_add_f64 v[19:20], v[45:46], v[19:20]
	;; [unrolled: 2-line block ×3, first 2 shown]
	v_fma_f64 v[35:36], v[167:168], s[30:31], -v[181:182]
	v_add_f64 v[11:12], v[41:42], v[11:12]
	v_mul_f64 v[29:30], v[133:134], s[58:59]
	v_fma_f64 v[47:48], v[165:166], s[40:41], v[37:38]
	v_add_f64 v[39:40], v[43:44], v[39:40]
	v_fma_f64 v[15:16], v[89:90], s[44:45], v[15:16]
	v_add_f64 v[19:20], v[33:34], v[19:20]
	v_fma_f64 v[37:38], v[165:166], s[40:41], -v[37:38]
	v_mul_f64 v[21:22], v[123:124], s[26:27]
	v_add_f64 v[11:12], v[35:36], v[11:12]
	v_fma_f64 v[43:44], v[163:164], s[26:27], v[29:30]
	v_mul_f64 v[25:26], v[117:118], s[6:7]
	v_add_f64 v[39:40], v[47:48], v[39:40]
	v_mul_f64 v[41:42], v[129:130], s[20:21]
	v_add_f64 v[19:20], v[15:16], v[19:20]
	v_add_f64 v[15:16], v[13:14], v[17:18]
	v_fma_f64 v[17:18], v[163:164], s[26:27], -v[29:30]
	v_add_f64 v[29:30], v[37:38], v[11:12]
	v_fma_f64 v[31:32], v[83:84], s[34:35], v[21:22]
	v_fma_f64 v[33:34], v[69:70], s[48:49], v[25:26]
	v_add_f64 v[35:36], v[43:44], v[39:40]
	v_mul_f64 v[39:40], v[155:156], s[16:17]
	v_add_f64 v[13:14], v[23:24], v[9:10]
	v_fma_f64 v[23:24], v[69:70], s[20:21], v[25:26]
	v_fma_f64 v[25:26], v[161:162], s[6:7], -v[41:42]
	v_add_f64 v[17:18], v[17:18], v[29:30]
	v_mul_f64 v[29:30], v[175:176], s[4:5]
	v_add_f64 v[27:28], v[31:32], v[27:28]
	v_fma_f64 v[31:32], v[161:162], s[6:7], v[41:42]
	v_mul_f64 v[41:42], v[169:170], s[6:7]
	v_mul_f64 v[183:184], v[151:152], s[48:49]
	v_fma_f64 v[185:186], v[149:150], s[4:5], v[39:40]
	v_mul_f64 v[47:48], v[173:174], s[30:31]
	v_fma_f64 v[39:40], v[149:150], s[4:5], -v[39:40]
	v_fma_f64 v[45:46], v[111:112], s[46:47], v[29:30]
	v_fma_f64 v[29:30], v[111:112], s[16:17], v[29:30]
	v_mul_f64 v[191:192], v[157:158], s[36:37]
	v_fma_f64 v[187:188], v[109:110], s[20:21], v[41:42]
	v_fma_f64 v[193:194], v[147:148], s[6:7], v[183:184]
	v_add_f64 v[185:186], v[5:6], v[185:186]
	v_add_f64 v[9:10], v[31:32], v[35:36]
	v_mul_f64 v[35:36], v[171:172], s[0:1]
	v_add_f64 v[45:46], v[7:8], v[45:46]
	v_fma_f64 v[189:190], v[107:108], s[38:39], v[47:48]
	v_fma_f64 v[41:42], v[109:110], s[48:49], v[41:42]
	v_add_f64 v[29:30], v[7:8], v[29:30]
	v_fma_f64 v[183:184], v[147:148], s[6:7], -v[183:184]
	v_add_f64 v[39:40], v[5:6], v[39:40]
	v_fma_f64 v[195:196], v[145:146], s[30:31], v[191:192]
	v_add_f64 v[185:186], v[193:194], v[185:186]
	v_add_f64 v[45:46], v[187:188], v[45:46]
	v_mul_f64 v[187:188], v[159:160], s[42:43]
	v_add_f64 v[11:12], v[33:34], v[27:28]
	v_mul_f64 v[33:34], v[143:144], s[18:19]
	v_fma_f64 v[181:182], v[101:102], s[52:53], v[35:36]
	v_fma_f64 v[47:48], v[107:108], s[36:37], v[47:48]
	v_add_f64 v[29:30], v[41:42], v[29:30]
	v_add_f64 v[39:40], v[183:184], v[39:40]
	;; [unrolled: 1-line block ×3, first 2 shown]
	v_fma_f64 v[45:46], v[145:146], s[30:31], -v[191:192]
	v_mul_f64 v[183:184], v[153:154], s[50:51]
	v_fma_f64 v[189:190], v[127:128], s[0:1], v[187:188]
	v_add_f64 v[185:186], v[195:196], v[185:186]
	v_fma_f64 v[21:22], v[83:84], s[58:59], v[21:22]
	v_mul_f64 v[27:28], v[137:138], s[26:27]
	v_fma_f64 v[179:180], v[95:96], s[24:25], v[33:34]
	v_fma_f64 v[35:36], v[101:102], s[42:43], v[35:36]
	v_add_f64 v[29:30], v[47:48], v[29:30]
	v_add_f64 v[41:42], v[181:182], v[41:42]
	v_fma_f64 v[47:48], v[127:128], s[0:1], -v[187:188]
	v_add_f64 v[39:40], v[45:46], v[39:40]
	v_mul_f64 v[45:46], v[139:140], s[34:35]
	v_fma_f64 v[181:182], v[167:168], s[18:19], v[183:184]
	v_add_f64 v[185:186], v[189:190], v[185:186]
	v_add_f64 v[19:20], v[21:22], v[19:20]
	v_mul_f64 v[21:22], v[123:124], s[40:41]
	v_fma_f64 v[43:44], v[89:90], s[58:59], v[27:28]
	v_fma_f64 v[33:34], v[95:96], s[50:51], v[33:34]
	v_add_f64 v[29:30], v[35:36], v[29:30]
	v_add_f64 v[35:36], v[179:180], v[41:42]
	v_fma_f64 v[41:42], v[167:168], s[18:19], -v[183:184]
	v_add_f64 v[39:40], v[47:48], v[39:40]
	v_mul_f64 v[47:48], v[133:134], s[44:45]
	v_fma_f64 v[179:180], v[165:166], s[26:27], v[45:46]
	v_add_f64 v[181:182], v[181:182], v[185:186]
	v_mul_f64 v[31:32], v[117:118], s[22:23]
	v_fma_f64 v[37:38], v[83:84], s[54:55], v[21:22]
	v_fma_f64 v[27:28], v[89:90], s[34:35], v[27:28]
	v_add_f64 v[29:30], v[33:34], v[29:30]
	v_add_f64 v[33:34], v[43:44], v[35:36]
	v_fma_f64 v[35:36], v[165:166], s[26:27], -v[45:46]
	v_add_f64 v[39:40], v[41:42], v[39:40]
	v_mul_f64 v[41:42], v[129:130], s[56:57]
	v_fma_f64 v[43:44], v[163:164], s[40:41], v[47:48]
	v_add_f64 v[45:46], v[179:180], v[181:182]
	v_fma_f64 v[21:22], v[83:84], s[44:45], v[21:22]
	v_add_f64 v[27:28], v[27:28], v[29:30]
	v_fma_f64 v[29:30], v[69:70], s[28:29], v[31:32]
	v_fma_f64 v[47:48], v[163:164], s[40:41], -v[47:48]
	v_add_f64 v[35:36], v[35:36], v[39:40]
	v_add_f64 v[33:34], v[37:38], v[33:34]
	v_fma_f64 v[37:38], v[161:162], s[22:23], v[41:42]
	v_add_f64 v[39:40], v[43:44], v[45:46]
	v_add_f64 v[23:24], v[23:24], v[19:20]
	;; [unrolled: 1-line block ×3, first 2 shown]
	v_fma_f64 v[41:42], v[161:162], s[22:23], -v[41:42]
	v_add_f64 v[21:22], v[25:26], v[17:18]
	v_add_f64 v[35:36], v[47:48], v[35:36]
	;; [unrolled: 1-line block ×3, first 2 shown]
	v_mul_f64 v[29:30], v[175:176], s[6:7]
	v_add_f64 v[17:18], v[37:38], v[39:40]
	v_mul_f64 v[39:40], v[155:156], s[20:21]
	v_mul_f64 v[183:184], v[151:152], s[52:53]
	;; [unrolled: 1-line block ×4, first 2 shown]
	v_add_f64 v[25:26], v[41:42], v[35:36]
	v_mul_f64 v[35:36], v[169:170], s[0:1]
	v_fma_f64 v[41:42], v[111:112], s[48:49], v[29:30]
	v_fma_f64 v[29:30], v[111:112], s[20:21], v[29:30]
	;; [unrolled: 1-line block ×4, first 2 shown]
	v_mul_f64 v[189:190], v[171:172], s[22:23]
	v_fma_f64 v[191:192], v[107:108], s[34:35], v[179:180]
	v_fma_f64 v[39:40], v[149:150], s[6:7], -v[39:40]
	v_fma_f64 v[181:182], v[109:110], s[42:43], v[35:36]
	v_add_f64 v[41:42], v[7:8], v[41:42]
	v_fma_f64 v[35:36], v[109:110], s[52:53], v[35:36]
	v_add_f64 v[185:186], v[5:6], v[185:186]
	v_add_f64 v[29:30], v[7:8], v[29:30]
	v_mul_f64 v[197:198], v[159:160], s[28:29]
	v_fma_f64 v[199:200], v[145:146], s[26:27], v[193:194]
	v_mul_f64 v[43:44], v[143:144], s[40:41]
	v_fma_f64 v[179:180], v[107:108], s[58:59], v[179:180]
	v_add_f64 v[41:42], v[181:182], v[41:42]
	v_fma_f64 v[181:182], v[101:102], s[56:57], v[189:190]
	v_add_f64 v[185:186], v[195:196], v[185:186]
	v_add_f64 v[29:30], v[35:36], v[29:30]
	v_fma_f64 v[35:36], v[147:148], s[0:1], -v[183:184]
	v_add_f64 v[39:40], v[5:6], v[39:40]
	v_mul_f64 v[183:184], v[153:154], s[44:45]
	v_fma_f64 v[31:32], v[69:70], s[56:57], v[31:32]
	v_add_f64 v[41:42], v[191:192], v[41:42]
	v_fma_f64 v[191:192], v[127:128], s[22:23], v[197:198]
	v_add_f64 v[185:186], v[199:200], v[185:186]
	v_mul_f64 v[33:34], v[137:138], s[18:19]
	v_fma_f64 v[187:188], v[95:96], s[54:55], v[43:44]
	v_add_f64 v[29:30], v[179:180], v[29:30]
	v_fma_f64 v[179:180], v[145:146], s[26:27], -v[193:194]
	v_add_f64 v[35:36], v[35:36], v[39:40]
	v_add_f64 v[41:42], v[181:182], v[41:42]
	v_fma_f64 v[181:182], v[101:102], s[28:29], v[189:190]
	v_mul_f64 v[39:40], v[139:140], s[50:51]
	v_fma_f64 v[189:190], v[167:168], s[40:41], v[183:184]
	v_add_f64 v[185:186], v[191:192], v[185:186]
	v_add_f64 v[27:28], v[31:32], v[27:28]
	v_mul_f64 v[31:32], v[123:124], s[30:31]
	v_fma_f64 v[47:48], v[89:90], s[24:25], v[33:34]
	v_add_f64 v[41:42], v[187:188], v[41:42]
	v_fma_f64 v[43:44], v[95:96], s[44:45], v[43:44]
	v_add_f64 v[29:30], v[181:182], v[29:30]
	v_fma_f64 v[181:182], v[127:128], s[22:23], -v[197:198]
	v_add_f64 v[35:36], v[179:180], v[35:36]
	v_mul_f64 v[179:180], v[133:134], s[36:37]
	v_fma_f64 v[187:188], v[165:166], s[18:19], v[39:40]
	v_add_f64 v[185:186], v[189:190], v[185:186]
	v_fma_f64 v[45:46], v[83:84], s[38:39], v[31:32]
	v_add_f64 v[41:42], v[47:48], v[41:42]
	;; [unrolled: 2-line block ×3, first 2 shown]
	v_fma_f64 v[43:44], v[167:168], s[40:41], -v[183:184]
	v_add_f64 v[35:36], v[181:182], v[35:36]
	v_mul_f64 v[47:48], v[129:130], s[16:17]
	v_fma_f64 v[181:182], v[163:164], s[30:31], v[179:180]
	v_add_f64 v[183:184], v[187:188], v[185:186]
	v_mul_f64 v[37:38], v[117:118], s[4:5]
	v_fma_f64 v[31:32], v[83:84], s[36:37], v[31:32]
	v_add_f64 v[29:30], v[33:34], v[29:30]
	v_fma_f64 v[33:34], v[165:166], s[18:19], -v[39:40]
	v_add_f64 v[35:36], v[43:44], v[35:36]
	v_add_f64 v[39:40], v[45:46], v[41:42]
	v_fma_f64 v[41:42], v[161:162], s[4:5], v[47:48]
	v_add_f64 v[43:44], v[181:182], v[183:184]
	v_mul_f64 v[45:46], v[175:176], s[18:19]
	v_fma_f64 v[185:186], v[69:70], s[46:47], v[37:38]
	v_fma_f64 v[37:38], v[69:70], s[16:17], v[37:38]
	v_add_f64 v[181:182], v[31:32], v[29:30]
	v_fma_f64 v[179:180], v[163:164], s[30:31], -v[179:180]
	v_add_f64 v[33:34], v[33:34], v[35:36]
	v_mul_f64 v[35:36], v[155:156], s[24:25]
	v_add_f64 v[29:30], v[41:42], v[43:44]
	v_mul_f64 v[41:42], v[169:170], s[40:41]
	v_fma_f64 v[43:44], v[111:112], s[50:51], v[45:46]
	v_add_f64 v[31:32], v[185:186], v[39:40]
	v_add_f64 v[39:40], v[37:38], v[181:182]
	v_fma_f64 v[37:38], v[161:162], s[4:5], -v[47:48]
	v_add_f64 v[33:34], v[179:180], v[33:34]
	v_mul_f64 v[47:48], v[151:152], s[44:45]
	v_fma_f64 v[179:180], v[149:150], s[18:19], v[35:36]
	v_mul_f64 v[181:182], v[173:174], s[6:7]
	v_fma_f64 v[183:184], v[109:110], s[54:55], v[41:42]
	v_add_f64 v[43:44], v[7:8], v[43:44]
	v_mul_f64 v[187:188], v[171:172], s[30:31]
	v_mul_f64 v[189:190], v[157:158], s[48:49]
	v_fma_f64 v[45:46], v[111:112], s[24:25], v[45:46]
	v_fma_f64 v[191:192], v[147:148], s[40:41], v[47:48]
	v_add_f64 v[179:180], v[5:6], v[179:180]
	v_fma_f64 v[193:194], v[107:108], s[20:21], v[181:182]
	v_mul_f64 v[197:198], v[159:160], s[38:39]
	v_add_f64 v[43:44], v[183:184], v[43:44]
	v_mul_f64 v[183:184], v[143:144], s[22:23]
	v_fma_f64 v[195:196], v[101:102], s[36:37], v[187:188]
	v_fma_f64 v[199:200], v[145:146], s[6:7], v[189:190]
	;; [unrolled: 1-line block ×3, first 2 shown]
	v_add_f64 v[179:180], v[191:192], v[179:180]
	v_add_f64 v[45:46], v[7:8], v[45:46]
	v_mul_f64 v[191:192], v[137:138], s[0:1]
	v_add_f64 v[43:44], v[193:194], v[43:44]
	v_fma_f64 v[193:194], v[95:96], s[56:57], v[183:184]
	v_mul_f64 v[201:202], v[153:154], s[28:29]
	v_fma_f64 v[203:204], v[127:128], s[30:31], v[197:198]
	v_fma_f64 v[181:182], v[107:108], s[48:49], v[181:182]
	v_add_f64 v[179:180], v[199:200], v[179:180]
	v_add_f64 v[41:42], v[41:42], v[45:46]
	v_mul_f64 v[45:46], v[123:124], s[4:5]
	v_add_f64 v[43:44], v[195:196], v[43:44]
	v_fma_f64 v[195:196], v[89:90], s[52:53], v[191:192]
	v_mul_f64 v[199:200], v[139:140], s[42:43]
	v_fma_f64 v[205:206], v[167:168], s[22:23], v[201:202]
	v_fma_f64 v[187:188], v[101:102], s[38:39], v[187:188]
	v_add_f64 v[179:180], v[203:204], v[179:180]
	v_add_f64 v[41:42], v[181:182], v[41:42]
	v_mul_f64 v[185:186], v[117:118], s[26:27]
	v_add_f64 v[43:44], v[193:194], v[43:44]
	v_fma_f64 v[181:182], v[83:84], s[16:17], v[45:46]
	v_mul_f64 v[193:194], v[133:134], s[46:47]
	v_fma_f64 v[203:204], v[165:166], s[0:1], v[199:200]
	v_fma_f64 v[35:36], v[149:150], s[18:19], -v[35:36]
	v_add_f64 v[179:180], v[205:206], v[179:180]
	v_fma_f64 v[183:184], v[95:96], s[28:29], v[183:184]
	v_add_f64 v[41:42], v[187:188], v[41:42]
	v_add_f64 v[43:44], v[195:196], v[43:44]
	v_mul_f64 v[187:188], v[129:130], s[58:59]
	v_fma_f64 v[195:196], v[163:164], s[4:5], v[193:194]
	v_fma_f64 v[47:48], v[147:148], s[40:41], -v[47:48]
	v_add_f64 v[35:36], v[5:6], v[35:36]
	v_add_f64 v[179:180], v[203:204], v[179:180]
	v_fma_f64 v[191:192], v[89:90], s[42:43], v[191:192]
	v_add_f64 v[41:42], v[183:184], v[41:42]
	v_fma_f64 v[183:184], v[69:70], s[34:35], v[185:186]
	;; [unrolled: 2-line block ×3, first 2 shown]
	v_fma_f64 v[189:190], v[145:146], s[6:7], -v[189:190]
	v_add_f64 v[47:48], v[47:48], v[35:36]
	v_add_f64 v[179:180], v[195:196], v[179:180]
	v_fma_f64 v[45:46], v[83:84], s[46:47], v[45:46]
	v_add_f64 v[41:42], v[191:192], v[41:42]
	v_add_f64 v[37:38], v[37:38], v[33:34]
	;; [unrolled: 1-line block ×3, first 2 shown]
	v_mul_f64 v[183:184], v[175:176], s[22:23]
	v_fma_f64 v[43:44], v[127:128], s[30:31], -v[197:198]
	v_add_f64 v[47:48], v[189:190], v[47:48]
	v_add_f64 v[33:34], v[181:182], v[179:180]
	v_fma_f64 v[179:180], v[69:70], s[58:59], v[185:186]
	v_mul_f64 v[181:182], v[155:156], s[28:29]
	v_mul_f64 v[185:186], v[169:170], s[4:5]
	v_add_f64 v[41:42], v[45:46], v[41:42]
	v_fma_f64 v[189:190], v[111:112], s[56:57], v[183:184]
	v_fma_f64 v[45:46], v[167:168], s[22:23], -v[201:202]
	v_add_f64 v[43:44], v[43:44], v[47:48]
	v_fma_f64 v[47:48], v[161:162], s[26:27], -v[187:188]
	v_fma_f64 v[187:188], v[165:166], s[0:1], -v[199:200]
	v_mul_f64 v[191:192], v[173:174], s[40:41]
	v_mul_f64 v[195:196], v[151:152], s[16:17]
	v_fma_f64 v[197:198], v[149:150], s[22:23], v[181:182]
	v_fma_f64 v[199:200], v[109:110], s[46:47], v[185:186]
	v_add_f64 v[189:190], v[7:8], v[189:190]
	v_add_f64 v[43:44], v[45:46], v[43:44]
	v_fma_f64 v[45:46], v[163:164], s[4:5], -v[193:194]
	v_mul_f64 v[193:194], v[171:172], s[6:7]
	v_mul_f64 v[201:202], v[157:158], s[54:55]
	v_fma_f64 v[203:204], v[147:148], s[4:5], v[195:196]
	v_add_f64 v[197:198], v[5:6], v[197:198]
	v_fma_f64 v[205:206], v[107:108], s[44:45], v[191:192]
	v_add_f64 v[189:190], v[199:200], v[189:190]
	v_add_f64 v[43:44], v[187:188], v[43:44]
	v_mul_f64 v[187:188], v[143:144], s[26:27]
	v_fma_f64 v[183:184], v[111:112], s[28:29], v[183:184]
	v_mul_f64 v[199:200], v[159:160], s[48:49]
	v_fma_f64 v[207:208], v[145:146], s[40:41], v[201:202]
	v_add_f64 v[197:198], v[203:204], v[197:198]
	v_fma_f64 v[203:204], v[101:102], s[20:21], v[193:194]
	v_add_f64 v[189:190], v[205:206], v[189:190]
	v_mul_f64 v[205:206], v[137:138], s[30:31]
	v_fma_f64 v[185:186], v[109:110], s[16:17], v[185:186]
	v_add_f64 v[183:184], v[7:8], v[183:184]
	v_mul_f64 v[209:210], v[153:154], s[58:59]
	v_fma_f64 v[211:212], v[127:128], s[6:7], v[199:200]
	v_add_f64 v[197:198], v[207:208], v[197:198]
	v_fma_f64 v[207:208], v[95:96], s[34:35], v[187:188]
	v_add_f64 v[189:190], v[203:204], v[189:190]
	v_mul_f64 v[203:204], v[123:124], s[18:19]
	v_fma_f64 v[191:192], v[107:108], s[54:55], v[191:192]
	v_add_f64 v[183:184], v[185:186], v[183:184]
	v_mul_f64 v[185:186], v[139:140], s[36:37]
	v_fma_f64 v[213:214], v[167:168], s[26:27], v[209:210]
	v_add_f64 v[197:198], v[211:212], v[197:198]
	v_fma_f64 v[211:212], v[89:90], s[38:39], v[205:206]
	v_add_f64 v[189:190], v[207:208], v[189:190]
	;; [unrolled: 2-line block ×3, first 2 shown]
	v_add_f64 v[183:184], v[191:192], v[183:184]
	v_mul_f64 v[191:192], v[133:134], s[24:25]
	v_fma_f64 v[215:216], v[165:166], s[30:31], v[185:186]
	v_add_f64 v[197:198], v[213:214], v[197:198]
	v_fma_f64 v[213:214], v[83:84], s[50:51], v[203:204]
	v_add_f64 v[189:190], v[211:212], v[189:190]
	v_fma_f64 v[45:46], v[95:96], s[58:59], v[187:188]
	v_fma_f64 v[181:182], v[149:150], s[22:23], -v[181:182]
	v_add_f64 v[183:184], v[193:194], v[183:184]
	v_fma_f64 v[193:194], v[163:164], s[18:19], v[191:192]
	v_fma_f64 v[205:206], v[89:90], s[36:37], v[205:206]
	v_add_f64 v[197:198], v[215:216], v[197:198]
	v_mul_f64 v[215:216], v[155:156], s[34:35]
	v_add_f64 v[189:190], v[213:214], v[189:190]
	v_mul_f64 v[213:214], v[175:176], s[26:27]
	v_fma_f64 v[195:196], v[147:148], s[4:5], -v[195:196]
	v_add_f64 v[45:46], v[45:46], v[183:184]
	v_add_f64 v[181:182], v[5:6], v[181:182]
	v_mul_f64 v[221:222], v[173:174], s[4:5]
	v_add_f64 v[193:194], v[193:194], v[197:198]
	v_fma_f64 v[197:198], v[83:84], s[24:25], v[203:204]
	v_mul_f64 v[203:204], v[169:170], s[18:19]
	v_fma_f64 v[217:218], v[111:112], s[58:59], v[213:214]
	v_fma_f64 v[219:220], v[149:150], s[26:27], v[215:216]
	v_add_f64 v[45:46], v[205:206], v[45:46]
	v_mul_f64 v[205:206], v[151:152], s[24:25]
	v_fma_f64 v[201:202], v[145:146], s[40:41], -v[201:202]
	v_add_f64 v[181:182], v[195:196], v[181:182]
	v_mul_f64 v[225:226], v[157:158], s[16:17]
	v_fma_f64 v[223:224], v[109:110], s[50:51], v[203:204]
	v_add_f64 v[217:218], v[7:8], v[217:218]
	v_add_f64 v[219:220], v[5:6], v[219:220]
	v_mul_f64 v[195:196], v[171:172], s[40:41]
	v_fma_f64 v[227:228], v[147:148], s[18:19], v[205:206]
	v_fma_f64 v[229:230], v[107:108], s[46:47], v[221:222]
	v_fma_f64 v[199:200], v[127:128], s[6:7], -v[199:200]
	v_add_f64 v[181:182], v[201:202], v[181:182]
	v_fma_f64 v[231:232], v[145:146], s[4:5], v[225:226]
	v_add_f64 v[217:218], v[223:224], v[217:218]
	v_mul_f64 v[223:224], v[159:160], s[44:45]
	v_mul_f64 v[201:202], v[143:144], s[0:1]
	v_add_f64 v[219:220], v[227:228], v[219:220]
	v_fma_f64 v[227:228], v[101:102], s[54:55], v[195:196]
	v_fma_f64 v[209:210], v[167:168], s[26:27], -v[209:210]
	v_add_f64 v[181:182], v[199:200], v[181:182]
	v_mul_f64 v[199:200], v[137:138], s[6:7]
	v_add_f64 v[217:218], v[229:230], v[217:218]
	v_fma_f64 v[233:234], v[127:128], s[40:41], v[223:224]
	v_fma_f64 v[185:186], v[165:166], s[30:31], -v[185:186]
	v_add_f64 v[219:220], v[231:232], v[219:220]
	v_fma_f64 v[231:232], v[95:96], s[42:43], v[201:202]
	v_mul_f64 v[207:208], v[117:118], s[0:1]
	v_add_f64 v[181:182], v[209:210], v[181:182]
	v_mul_f64 v[187:188], v[129:130], s[42:43]
	v_add_f64 v[217:218], v[227:228], v[217:218]
	v_mul_f64 v[209:210], v[123:124], s[22:23]
	v_fma_f64 v[191:192], v[163:164], s[18:19], -v[191:192]
	v_add_f64 v[219:220], v[233:234], v[219:220]
	v_fma_f64 v[233:234], v[89:90], s[20:21], v[199:200]
	v_add_f64 v[141:142], v[7:8], v[141:142]
	v_add_f64 v[181:182], v[185:186], v[181:182]
	;; [unrolled: 1-line block ×4, first 2 shown]
	v_fma_f64 v[211:212], v[69:70], s[52:53], v[207:208]
	v_fma_f64 v[183:184], v[161:162], s[0:1], v[187:188]
	;; [unrolled: 1-line block ×4, first 2 shown]
	v_add_f64 v[197:198], v[197:198], v[45:46]
	v_fma_f64 v[187:188], v[161:162], s[0:1], -v[187:188]
	v_add_f64 v[191:192], v[191:192], v[181:182]
	v_add_f64 v[217:218], v[233:234], v[217:218]
	v_mul_f64 v[175:176], v[175:176], s[30:31]
	v_add_f64 v[125:126], v[141:142], v[125:126]
	v_add_f64 v[131:132], v[135:136], v[131:132]
	;; [unrolled: 1-line block ×3, first 2 shown]
	v_mul_f64 v[169:170], v[169:170], s[26:27]
	v_fma_f64 v[193:194], v[89:90], s[48:49], v[199:200]
	v_add_f64 v[183:184], v[187:188], v[191:192]
	v_add_f64 v[217:218], v[185:186], v[217:218]
	;; [unrolled: 1-line block ×3, first 2 shown]
	v_fma_f64 v[187:188], v[111:112], s[34:35], v[213:214]
	v_fma_f64 v[191:192], v[149:150], s[26:27], -v[215:216]
	v_fma_f64 v[197:198], v[95:96], s[52:53], v[201:202]
	v_fma_f64 v[201:202], v[111:112], s[38:39], v[175:176]
	v_add_f64 v[119:120], v[125:126], v[119:120]
	v_add_f64 v[121:122], v[131:132], v[121:122]
	v_fma_f64 v[199:200], v[109:110], s[24:25], v[203:204]
	v_fma_f64 v[203:204], v[147:148], s[18:19], -v[205:206]
	v_add_f64 v[187:188], v[7:8], v[187:188]
	v_add_f64 v[191:192], v[5:6], v[191:192]
	v_mul_f64 v[173:174], v[173:174], s[22:23]
	v_fma_f64 v[207:208], v[109:110], s[58:59], v[169:170]
	v_add_f64 v[201:202], v[7:8], v[201:202]
	v_add_f64 v[113:114], v[119:120], v[113:114]
	;; [unrolled: 1-line block ×3, first 2 shown]
	v_fma_f64 v[205:206], v[107:108], s[16:17], v[221:222]
	v_add_f64 v[187:188], v[199:200], v[187:188]
	v_fma_f64 v[199:200], v[145:146], s[4:5], -v[225:226]
	v_add_f64 v[191:192], v[203:204], v[191:192]
	v_mul_f64 v[171:172], v[171:172], s[18:19]
	v_fma_f64 v[203:204], v[107:108], s[56:57], v[173:174]
	v_add_f64 v[201:202], v[207:208], v[201:202]
	v_add_f64 v[103:104], v[113:114], v[103:104]
	;; [unrolled: 1-line block ×3, first 2 shown]
	v_mul_f64 v[229:230], v[153:154], s[52:53]
	v_fma_f64 v[195:196], v[101:102], s[44:45], v[195:196]
	v_add_f64 v[187:188], v[205:206], v[187:188]
	v_fma_f64 v[205:206], v[127:128], s[40:41], -v[223:224]
	v_add_f64 v[191:192], v[199:200], v[191:192]
	v_mul_f64 v[143:144], v[143:144], s[6:7]
	v_fma_f64 v[199:200], v[101:102], s[50:51], v[171:172]
	v_add_f64 v[135:136], v[203:204], v[201:202]
	v_add_f64 v[97:98], v[103:104], v[97:98]
	;; [unrolled: 1-line block ×3, first 2 shown]
	v_mul_f64 v[227:228], v[139:140], s[48:49]
	v_add_f64 v[141:142], v[195:196], v[187:188]
	v_fma_f64 v[187:188], v[167:168], s[0:1], -v[229:230]
	v_add_f64 v[191:192], v[205:206], v[191:192]
	v_mul_f64 v[137:138], v[137:138], s[4:5]
	v_fma_f64 v[195:196], v[95:96], s[48:49], v[143:144]
	v_add_f64 v[125:126], v[199:200], v[135:136]
	v_mul_f64 v[105:106], v[155:156], s[36:37]
	v_add_f64 v[91:92], v[97:98], v[91:92]
	v_add_f64 v[93:94], v[99:100], v[93:94]
	v_add_f64 v[131:132], v[197:198], v[141:142]
	v_fma_f64 v[135:136], v[165:166], s[6:7], -v[227:228]
	v_add_f64 v[141:142], v[187:188], v[191:192]
	v_mul_f64 v[123:124], v[123:124], s[0:1]
	v_fma_f64 v[187:188], v[89:90], s[46:47], v[137:138]
	v_add_f64 v[119:120], v[195:196], v[125:126]
	v_mul_f64 v[97:98], v[151:152], s[34:35]
	v_fma_f64 v[99:100], v[149:150], s[30:31], v[105:106]
	v_fma_f64 v[111:112], v[111:112], s[36:37], v[175:176]
	v_fma_f64 v[105:106], v[149:150], s[30:31], -v[105:106]
	v_add_f64 v[85:86], v[91:92], v[85:86]
	v_add_f64 v[87:88], v[93:94], v[87:88]
	;; [unrolled: 1-line block ×4, first 2 shown]
	v_fma_f64 v[135:136], v[83:84], s[52:53], v[123:124]
	v_add_f64 v[113:114], v[187:188], v[119:120]
	v_mul_f64 v[141:142], v[157:158], s[28:29]
	v_fma_f64 v[91:92], v[147:148], s[26:27], v[97:98]
	v_add_f64 v[93:94], v[5:6], v[99:100]
	v_fma_f64 v[99:100], v[109:110], s[34:35], v[169:170]
	v_add_f64 v[7:8], v[7:8], v[111:112]
	v_fma_f64 v[97:98], v[147:148], s[26:27], -v[97:98]
	v_add_f64 v[5:6], v[5:6], v[105:106]
	v_add_f64 v[79:80], v[85:86], v[79:80]
	;; [unrolled: 1-line block ×3, first 2 shown]
	v_mul_f64 v[231:232], v[133:134], s[56:57]
	v_mul_f64 v[233:234], v[129:130], s[38:39]
	v_add_f64 v[103:104], v[135:136], v[113:114]
	v_mul_f64 v[113:114], v[129:130], s[44:45]
	v_mul_f64 v[129:130], v[133:134], s[42:43]
	;; [unrolled: 1-line block ×4, first 2 shown]
	v_fma_f64 v[85:86], v[145:146], s[22:23], v[141:142]
	v_add_f64 v[87:88], v[91:92], v[93:94]
	v_fma_f64 v[91:92], v[107:108], s[28:29], v[173:174]
	v_add_f64 v[7:8], v[99:100], v[7:8]
	v_fma_f64 v[93:94], v[145:146], s[22:23], -v[141:142]
	v_add_f64 v[5:6], v[97:98], v[5:6]
	v_add_f64 v[75:76], v[79:80], v[75:76]
	;; [unrolled: 1-line block ×3, first 2 shown]
	v_mul_f64 v[135:136], v[153:154], s[20:21]
	v_fma_f64 v[79:80], v[127:128], s[18:19], v[139:140]
	v_add_f64 v[81:82], v[85:86], v[87:88]
	v_fma_f64 v[85:86], v[101:102], s[24:25], v[171:172]
	v_add_f64 v[7:8], v[91:92], v[7:8]
	v_fma_f64 v[87:88], v[127:128], s[18:19], -v[139:140]
	v_add_f64 v[5:6], v[93:94], v[5:6]
	v_add_f64 v[71:72], v[75:76], v[71:72]
	v_add_f64 v[73:74], v[77:78], v[73:74]
	v_fma_f64 v[75:76], v[167:168], s[6:7], v[135:136]
	v_add_f64 v[77:78], v[79:80], v[81:82]
	v_fma_f64 v[79:80], v[95:96], s[20:21], v[143:144]
	v_add_f64 v[7:8], v[85:86], v[7:8]
	v_fma_f64 v[81:82], v[167:168], s[6:7], -v[135:136]
	v_add_f64 v[5:6], v[87:88], v[5:6]
	v_add_f64 v[63:64], v[71:72], v[63:64]
	;; [unrolled: 1-line block ×3, first 2 shown]
	v_fma_f64 v[71:72], v[165:166], s[4:5], v[133:134]
	v_add_f64 v[73:74], v[75:76], v[77:78]
	v_fma_f64 v[75:76], v[89:90], s[16:17], v[137:138]
	v_add_f64 v[7:8], v[79:80], v[7:8]
	v_fma_f64 v[77:78], v[165:166], s[4:5], -v[133:134]
	v_add_f64 v[5:6], v[81:82], v[5:6]
	v_add_f64 v[59:60], v[63:64], v[59:60]
	v_fma_f64 v[235:236], v[167:168], s[0:1], v[229:230]
	v_add_f64 v[61:62], v[67:68], v[61:62]
	v_fma_f64 v[63:64], v[163:164], s[0:1], v[129:130]
	;; [unrolled: 2-line block ×3, first 2 shown]
	v_add_f64 v[7:8], v[75:76], v[7:8]
	v_fma_f64 v[73:74], v[163:164], s[0:1], -v[129:130]
	v_add_f64 v[5:6], v[77:78], v[5:6]
	v_add_f64 v[55:56], v[59:60], v[55:56]
	;; [unrolled: 1-line block ×3, first 2 shown]
	v_mul_f64 v[235:236], v[117:118], s[30:31]
	v_mul_f64 v[117:118], v[117:118], s[40:41]
	v_add_f64 v[59:60], v[61:62], v[65:66]
	v_fma_f64 v[61:62], v[161:162], s[40:41], v[113:114]
	v_add_f64 v[63:64], v[63:64], v[67:68]
	v_add_f64 v[67:68], v[71:72], v[7:8]
	;; [unrolled: 1-line block ×4, first 2 shown]
	v_fma_f64 v[237:238], v[165:166], s[6:7], v[227:228]
	v_fma_f64 v[65:66], v[69:70], s[44:45], v[117:118]
	v_add_f64 v[75:76], v[59:60], v[57:58]
	v_fma_f64 v[125:126], v[163:164], s[22:23], -v[231:232]
	v_add_f64 v[53:54], v[61:62], v[63:64]
	v_add_f64 v[181:182], v[179:180], v[41:42]
	;; [unrolled: 1-line block ×4, first 2 shown]
	v_mad_u64_u32 v[49:50], s[0:1], s10, v177, 0
	s_movk_i32 s0, 0x227
	v_mul_u32_u24_sdwa v0, v0, s0 dst_sel:DWORD dst_unused:UNUSED_PAD src0_sel:WORD_0 src1_sel:DWORD
	s_movk_i32 s0, 0x121
	v_mul_lo_u16_sdwa v0, v0, s0 dst_sel:DWORD dst_unused:UNUSED_PAD src0_sel:WORD_1 src1_sel:DWORD
	v_add_f64 v[59:60], v[65:66], v[67:68]
	v_add_u32_sdwa v68, v178, v0 dst_sel:DWORD dst_unused:UNUSED_PAD src0_sel:BYTE_0 src1_sel:DWORD
	v_add_f64 v[61:62], v[75:76], v[51:52]
	v_mad_u64_u32 v[51:52], s[0:1], s8, v68, 0
	v_mov_b32_e32 v0, v50
	v_mad_u64_u32 v[65:66], s[0:1], s11, v177, v[0:1]
	v_mov_b32_e32 v0, v52
	v_mad_u64_u32 v[66:67], s[0:1], s9, v68, v[0:1]
	v_add_f64 v[47:48], v[211:212], v[189:190]
	v_fma_f64 v[189:190], v[83:84], s[56:57], v[209:210]
	v_mov_b32_e32 v50, v65
	s_lshl_b64 s[0:1], s[2:3], 4
	s_add_u32 s0, s12, s0
	v_lshlrev_b64 v[49:50], 4, v[49:50]
	v_add_f64 v[219:220], v[237:238], v[219:220]
	v_fma_f64 v[237:238], v[69:70], s[36:37], v[235:236]
	v_fma_f64 v[115:116], v[69:70], s[38:39], v[235:236]
	v_add_f64 v[125:126], v[125:126], v[131:132]
	v_fma_f64 v[131:132], v[69:70], s[54:55], v[117:118]
	v_fma_f64 v[69:70], v[161:162], s[40:41], -v[113:114]
	s_addc_u32 s1, s13, s1
	v_mov_b32_e32 v52, v66
	v_mov_b32_e32 v0, s1
	v_add_co_u32_e32 v65, vcc, s0, v49
	v_add_u32_e32 v67, 17, v68
	v_addc_co_u32_e32 v66, vcc, v0, v50, vcc
	v_lshlrev_b64 v[49:50], 4, v[51:52]
	v_mad_u64_u32 v[51:52], s[0:1], s8, v67, 0
	v_add_co_u32_e32 v49, vcc, v65, v49
	v_add_f64 v[119:120], v[189:190], v[121:122]
	v_fma_f64 v[121:122], v[161:162], s[30:31], -v[233:234]
	v_addc_co_u32_e32 v50, vcc, v66, v50, vcc
	v_mov_b32_e32 v0, v52
	global_store_dwordx4 v[49:50], v[61:64], off
	v_mad_u64_u32 v[49:50], s[0:1], s9, v67, v[0:1]
	v_add_u32_e32 v63, 34, v68
	v_add_f64 v[57:58], v[69:70], v[71:72]
	v_mad_u64_u32 v[61:62], s[0:1], s8, v63, 0
	v_mov_b32_e32 v52, v49
	v_lshlrev_b64 v[49:50], 4, v[51:52]
	v_mov_b32_e32 v0, v62
	v_mad_u64_u32 v[51:52], s[0:1], s9, v63, v[0:1]
	v_add_f64 v[7:8], v[115:116], v[119:120]
	v_add_f64 v[5:6], v[121:122], v[125:126]
	v_add_co_u32_e32 v49, vcc, v65, v49
	v_addc_co_u32_e32 v50, vcc, v66, v50, vcc
	global_store_dwordx4 v[49:50], v[57:60], off
	v_mov_b32_e32 v62, v51
	v_add_u32_e32 v57, 51, v68
	v_mad_u64_u32 v[51:52], s[0:1], s8, v57, 0
	v_lshlrev_b64 v[49:50], 4, v[61:62]
	v_fma_f64 v[239:240], v[163:164], s[22:23], v[231:232]
	v_add_co_u32_e32 v49, vcc, v65, v49
	v_addc_co_u32_e32 v50, vcc, v66, v50, vcc
	v_mov_b32_e32 v0, v52
	global_store_dwordx4 v[49:50], v[5:8], off
	v_fma_f64 v[241:242], v[161:162], s[30:31], v[233:234]
	v_mad_u64_u32 v[5:6], s[0:1], s9, v57, v[0:1]
	v_add_u32_e32 v8, 0x44, v68
	v_mad_u64_u32 v[6:7], s[0:1], s8, v8, 0
	v_mov_b32_e32 v52, v5
	v_lshlrev_b64 v[49:50], 4, v[51:52]
	v_mov_b32_e32 v0, v7
	v_mad_u64_u32 v[7:8], s[0:1], s9, v8, v[0:1]
	v_add_co_u32_e32 v49, vcc, v65, v49
	v_addc_co_u32_e32 v50, vcc, v66, v50, vcc
	global_store_dwordx4 v[49:50], v[183:186], off
	v_add_u32_e32 v49, 0x55, v68
	v_lshlrev_b64 v[5:6], 4, v[6:7]
	v_mad_u64_u32 v[7:8], s[0:1], s8, v49, 0
	v_add_co_u32_e32 v5, vcc, v65, v5
	v_addc_co_u32_e32 v6, vcc, v66, v6, vcc
	v_mov_b32_e32 v0, v8
	v_add_u32_e32 v51, 0x66, v68
	global_store_dwordx4 v[5:6], v[179:182], off
	v_mad_u64_u32 v[5:6], s[0:1], s9, v49, v[0:1]
	v_mad_u64_u32 v[49:50], s[0:1], s8, v51, 0
	v_mov_b32_e32 v8, v5
	v_lshlrev_b64 v[5:6], 4, v[7:8]
	v_mov_b32_e32 v0, v50
	v_mad_u64_u32 v[7:8], s[0:1], s9, v51, v[0:1]
	v_add_co_u32_e32 v5, vcc, v65, v5
	v_addc_co_u32_e32 v6, vcc, v66, v6, vcc
	global_store_dwordx4 v[5:6], v[37:40], off
	v_mov_b32_e32 v50, v7
	v_add_u32_e32 v37, 0x77, v68
	v_lshlrev_b64 v[5:6], 4, v[49:50]
	v_mad_u64_u32 v[7:8], s[0:1], s8, v37, 0
	v_add_co_u32_e32 v5, vcc, v65, v5
	v_addc_co_u32_e32 v6, vcc, v66, v6, vcc
	global_store_dwordx4 v[5:6], v[25:28], off
	v_mov_b32_e32 v0, v8
	v_add_u32_e32 v27, 0x88, v68
	v_mad_u64_u32 v[5:6], s[0:1], s9, v37, v[0:1]
	v_mad_u64_u32 v[25:26], s[0:1], s8, v27, 0
	v_mov_b32_e32 v8, v5
	v_lshlrev_b64 v[5:6], 4, v[7:8]
	v_mov_b32_e32 v0, v26
	v_mad_u64_u32 v[7:8], s[0:1], s9, v27, v[0:1]
	v_add_co_u32_e32 v5, vcc, v65, v5
	v_addc_co_u32_e32 v6, vcc, v66, v6, vcc
	global_store_dwordx4 v[5:6], v[21:24], off
	v_mov_b32_e32 v26, v7
	v_add_u32_e32 v21, 0x99, v68
	v_lshlrev_b64 v[5:6], 4, v[25:26]
	v_mad_u64_u32 v[7:8], s[0:1], s8, v21, 0
	v_add_co_u32_e32 v5, vcc, v65, v5
	v_addc_co_u32_e32 v6, vcc, v66, v6, vcc
	global_store_dwordx4 v[5:6], v[13:16], off
	v_mov_b32_e32 v0, v8
	v_add_u32_e32 v15, 0xaa, v68
	v_mad_u64_u32 v[5:6], s[0:1], s9, v21, v[0:1]
	v_mad_u64_u32 v[13:14], s[0:1], s8, v15, 0
	v_mov_b32_e32 v8, v5
	v_lshlrev_b64 v[5:6], 4, v[7:8]
	v_mov_b32_e32 v0, v14
	v_mad_u64_u32 v[7:8], s[0:1], s9, v15, v[0:1]
	v_add_co_u32_e32 v5, vcc, v65, v5
	v_addc_co_u32_e32 v6, vcc, v66, v6, vcc
	global_store_dwordx4 v[5:6], v[1:4], off
	v_mov_b32_e32 v14, v7
	v_add_u32_e32 v4, 0xbb, v68
	v_lshlrev_b64 v[0:1], 4, v[13:14]
	v_mad_u64_u32 v[2:3], s[0:1], s8, v4, 0
	v_add_co_u32_e32 v0, vcc, v65, v0
	v_addc_co_u32_e32 v1, vcc, v66, v1, vcc
	global_store_dwordx4 v[0:1], v[9:12], off
	v_mov_b32_e32 v0, v3
	v_mad_u64_u32 v[0:1], s[0:1], s9, v4, v[0:1]
	v_add_u32_e32 v6, 0xcc, v68
	v_mad_u64_u32 v[4:5], s[0:1], s8, v6, 0
	v_mov_b32_e32 v3, v0
	v_lshlrev_b64 v[0:1], 4, v[2:3]
	v_mov_b32_e32 v2, v5
	v_mad_u64_u32 v[2:3], s[0:1], s9, v6, v[2:3]
	v_add_co_u32_e32 v0, vcc, v65, v0
	v_addc_co_u32_e32 v1, vcc, v66, v1, vcc
	v_mov_b32_e32 v5, v2
	global_store_dwordx4 v[0:1], v[17:20], off
	v_lshlrev_b64 v[0:1], 4, v[4:5]
	v_add_u32_e32 v4, 0xdd, v68
	v_mad_u64_u32 v[2:3], s[0:1], s8, v4, 0
	v_add_co_u32_e32 v0, vcc, v65, v0
	v_addc_co_u32_e32 v1, vcc, v66, v1, vcc
	global_store_dwordx4 v[0:1], v[29:32], off
	v_mov_b32_e32 v0, v3
	v_mad_u64_u32 v[0:1], s[0:1], s9, v4, v[0:1]
	v_add_u32_e32 v6, 0xee, v68
	v_mad_u64_u32 v[4:5], s[0:1], s8, v6, 0
	v_mov_b32_e32 v3, v0
	v_lshlrev_b64 v[0:1], 4, v[2:3]
	v_mov_b32_e32 v2, v5
	v_mad_u64_u32 v[2:3], s[0:1], s9, v6, v[2:3]
	v_add_co_u32_e32 v0, vcc, v65, v0
	v_addc_co_u32_e32 v1, vcc, v66, v1, vcc
	v_mov_b32_e32 v5, v2
	global_store_dwordx4 v[0:1], v[33:36], off
	v_lshlrev_b64 v[0:1], 4, v[4:5]
	v_add_u32_e32 v4, 0xff, v68
	v_add_f64 v[219:220], v[239:240], v[219:220]
	v_mad_u64_u32 v[2:3], s[0:1], s8, v4, 0
	v_add_co_u32_e32 v0, vcc, v65, v0
	v_addc_co_u32_e32 v1, vcc, v66, v1, vcc
	global_store_dwordx4 v[0:1], v[45:48], off
	v_mov_b32_e32 v0, v3
	v_mad_u64_u32 v[0:1], s[0:1], s9, v4, v[0:1]
	v_add_u32_e32 v6, 0x110, v68
	v_mad_u64_u32 v[4:5], s[0:1], s8, v6, 0
	v_add_f64 v[43:44], v[237:238], v[217:218]
	v_add_f64 v[41:42], v[241:242], v[219:220]
	v_mov_b32_e32 v3, v0
	v_lshlrev_b64 v[0:1], 4, v[2:3]
	v_mov_b32_e32 v2, v5
	v_mad_u64_u32 v[2:3], s[0:1], s9, v6, v[2:3]
	v_add_f64 v[55:56], v[131:132], v[103:104]
	v_add_co_u32_e32 v0, vcc, v65, v0
	v_addc_co_u32_e32 v1, vcc, v66, v1, vcc
	v_mov_b32_e32 v5, v2
	global_store_dwordx4 v[0:1], v[41:44], off
	v_lshlrev_b64 v[0:1], 4, v[4:5]
	v_add_co_u32_e32 v0, vcc, v65, v0
	v_addc_co_u32_e32 v1, vcc, v66, v1, vcc
	global_store_dwordx4 v[0:1], v[53:56], off
.LBB0_16:
	s_endpgm
	.section	.rodata,"a",@progbits
	.p2align	6, 0x0
	.amdhsa_kernel fft_rtc_fwd_len289_factors_17_17_wgs_119_tpt_17_dp_ip_CI_sbcc_dirReg
		.amdhsa_group_segment_fixed_size 0
		.amdhsa_private_segment_fixed_size 0
		.amdhsa_kernarg_size 96
		.amdhsa_user_sgpr_count 6
		.amdhsa_user_sgpr_private_segment_buffer 1
		.amdhsa_user_sgpr_dispatch_ptr 0
		.amdhsa_user_sgpr_queue_ptr 0
		.amdhsa_user_sgpr_kernarg_segment_ptr 1
		.amdhsa_user_sgpr_dispatch_id 0
		.amdhsa_user_sgpr_flat_scratch_init 0
		.amdhsa_user_sgpr_private_segment_size 0
		.amdhsa_uses_dynamic_stack 0
		.amdhsa_system_sgpr_private_segment_wavefront_offset 0
		.amdhsa_system_sgpr_workgroup_id_x 1
		.amdhsa_system_sgpr_workgroup_id_y 0
		.amdhsa_system_sgpr_workgroup_id_z 0
		.amdhsa_system_sgpr_workgroup_info 0
		.amdhsa_system_vgpr_workitem_id 0
		.amdhsa_next_free_vgpr 243
		.amdhsa_next_free_sgpr 64
		.amdhsa_reserve_vcc 1
		.amdhsa_reserve_flat_scratch 0
		.amdhsa_float_round_mode_32 0
		.amdhsa_float_round_mode_16_64 0
		.amdhsa_float_denorm_mode_32 3
		.amdhsa_float_denorm_mode_16_64 3
		.amdhsa_dx10_clamp 1
		.amdhsa_ieee_mode 1
		.amdhsa_fp16_overflow 0
		.amdhsa_exception_fp_ieee_invalid_op 0
		.amdhsa_exception_fp_denorm_src 0
		.amdhsa_exception_fp_ieee_div_zero 0
		.amdhsa_exception_fp_ieee_overflow 0
		.amdhsa_exception_fp_ieee_underflow 0
		.amdhsa_exception_fp_ieee_inexact 0
		.amdhsa_exception_int_div_zero 0
	.end_amdhsa_kernel
	.text
.Lfunc_end0:
	.size	fft_rtc_fwd_len289_factors_17_17_wgs_119_tpt_17_dp_ip_CI_sbcc_dirReg, .Lfunc_end0-fft_rtc_fwd_len289_factors_17_17_wgs_119_tpt_17_dp_ip_CI_sbcc_dirReg
                                        ; -- End function
	.section	.AMDGPU.csdata,"",@progbits
; Kernel info:
; codeLenInByte = 16228
; NumSgprs: 68
; NumVgprs: 243
; ScratchSize: 0
; MemoryBound: 1
; FloatMode: 240
; IeeeMode: 1
; LDSByteSize: 0 bytes/workgroup (compile time only)
; SGPRBlocks: 8
; VGPRBlocks: 60
; NumSGPRsForWavesPerEU: 68
; NumVGPRsForWavesPerEU: 243
; Occupancy: 1
; WaveLimiterHint : 1
; COMPUTE_PGM_RSRC2:SCRATCH_EN: 0
; COMPUTE_PGM_RSRC2:USER_SGPR: 6
; COMPUTE_PGM_RSRC2:TRAP_HANDLER: 0
; COMPUTE_PGM_RSRC2:TGID_X_EN: 1
; COMPUTE_PGM_RSRC2:TGID_Y_EN: 0
; COMPUTE_PGM_RSRC2:TGID_Z_EN: 0
; COMPUTE_PGM_RSRC2:TIDIG_COMP_CNT: 0
	.type	__hip_cuid_da2cdc6cc47a8337,@object ; @__hip_cuid_da2cdc6cc47a8337
	.section	.bss,"aw",@nobits
	.globl	__hip_cuid_da2cdc6cc47a8337
__hip_cuid_da2cdc6cc47a8337:
	.byte	0                               ; 0x0
	.size	__hip_cuid_da2cdc6cc47a8337, 1

	.ident	"AMD clang version 19.0.0git (https://github.com/RadeonOpenCompute/llvm-project roc-6.4.0 25133 c7fe45cf4b819c5991fe208aaa96edf142730f1d)"
	.section	".note.GNU-stack","",@progbits
	.addrsig
	.addrsig_sym __hip_cuid_da2cdc6cc47a8337
	.amdgpu_metadata
---
amdhsa.kernels:
  - .args:
      - .actual_access:  read_only
        .address_space:  global
        .offset:         0
        .size:           8
        .value_kind:     global_buffer
      - .address_space:  global
        .offset:         8
        .size:           8
        .value_kind:     global_buffer
      - .offset:         16
        .size:           8
        .value_kind:     by_value
      - .actual_access:  read_only
        .address_space:  global
        .offset:         24
        .size:           8
        .value_kind:     global_buffer
      - .actual_access:  read_only
        .address_space:  global
        .offset:         32
        .size:           8
        .value_kind:     global_buffer
      - .offset:         40
        .size:           8
        .value_kind:     by_value
      - .actual_access:  read_only
        .address_space:  global
        .offset:         48
        .size:           8
        .value_kind:     global_buffer
      - .actual_access:  read_only
        .address_space:  global
        .offset:         56
        .size:           8
        .value_kind:     global_buffer
      - .offset:         64
        .size:           4
        .value_kind:     by_value
      - .actual_access:  read_only
        .address_space:  global
        .offset:         72
        .size:           8
        .value_kind:     global_buffer
      - .actual_access:  read_only
        .address_space:  global
        .offset:         80
        .size:           8
        .value_kind:     global_buffer
      - .address_space:  global
        .offset:         88
        .size:           8
        .value_kind:     global_buffer
    .group_segment_fixed_size: 0
    .kernarg_segment_align: 8
    .kernarg_segment_size: 96
    .language:       OpenCL C
    .language_version:
      - 2
      - 0
    .max_flat_workgroup_size: 119
    .name:           fft_rtc_fwd_len289_factors_17_17_wgs_119_tpt_17_dp_ip_CI_sbcc_dirReg
    .private_segment_fixed_size: 0
    .sgpr_count:     68
    .sgpr_spill_count: 0
    .symbol:         fft_rtc_fwd_len289_factors_17_17_wgs_119_tpt_17_dp_ip_CI_sbcc_dirReg.kd
    .uniform_work_group_size: 1
    .uses_dynamic_stack: false
    .vgpr_count:     243
    .vgpr_spill_count: 0
    .wavefront_size: 64
amdhsa.target:   amdgcn-amd-amdhsa--gfx906
amdhsa.version:
  - 1
  - 2
...

	.end_amdgpu_metadata
